;; amdgpu-corpus repo=ROCm/rocFFT kind=compiled arch=gfx906 opt=O3
	.text
	.amdgcn_target "amdgcn-amd-amdhsa--gfx906"
	.amdhsa_code_object_version 6
	.protected	bluestein_single_fwd_len1377_dim1_half_op_CI_CI ; -- Begin function bluestein_single_fwd_len1377_dim1_half_op_CI_CI
	.globl	bluestein_single_fwd_len1377_dim1_half_op_CI_CI
	.p2align	8
	.type	bluestein_single_fwd_len1377_dim1_half_op_CI_CI,@function
bluestein_single_fwd_len1377_dim1_half_op_CI_CI: ; @bluestein_single_fwd_len1377_dim1_half_op_CI_CI
; %bb.0:
	s_load_dwordx4 s[8:11], s[4:5], 0x28
	s_mov_b64 s[54:55], s[2:3]
	v_mul_u32_u24_e32 v1, 0x506, v0
	s_mov_b64 s[52:53], s[0:1]
	v_add_u32_sdwa v4, s6, v1 dst_sel:DWORD dst_unused:UNUSED_PAD src0_sel:DWORD src1_sel:WORD_1
	v_mov_b32_e32 v5, 0
	s_add_u32 s52, s52, s7
	s_waitcnt lgkmcnt(0)
	v_cmp_gt_u64_e32 vcc, s[8:9], v[4:5]
	s_addc_u32 s53, s53, 0
	s_and_saveexec_b64 s[0:1], vcc
	s_cbranch_execz .LBB0_15
; %bb.1:
	s_load_dwordx4 s[12:15], s[4:5], 0x18
	v_mov_b32_e32 v2, 51
	v_mul_lo_u16_sdwa v1, v1, v2 dst_sel:DWORD dst_unused:UNUSED_PAD src0_sel:WORD_1 src1_sel:DWORD
	v_sub_u16_e32 v104, v0, v1
	v_mov_b32_e32 v5, v4
	s_waitcnt lgkmcnt(0)
	s_load_dwordx4 s[0:3], s[12:13], 0x0
	buffer_store_dword v5, off, s[52:55], 0 ; 4-byte Folded Spill
	s_nop 0
	buffer_store_dword v6, off, s[52:55], 0 offset:4 ; 4-byte Folded Spill
	v_lshlrev_b32_e32 v87, 2, v104
	s_waitcnt lgkmcnt(0)
	v_mad_u64_u32 v[0:1], s[6:7], s2, v4, 0
	v_mad_u64_u32 v[2:3], s[6:7], s0, v104, 0
	s_mul_i32 s6, s1, 0x51
	s_mul_hi_u32 s7, s0, 0x51
	v_mad_u64_u32 v[4:5], s[2:3], s3, v4, v[1:2]
	s_add_i32 s7, s7, s6
	s_mul_i32 s6, s0, 0x51
	v_mad_u64_u32 v[5:6], s[2:3], s1, v104, v[3:4]
	v_mov_b32_e32 v1, v4
	v_lshlrev_b64 v[0:1], 2, v[0:1]
	v_mov_b32_e32 v6, s11
	v_mov_b32_e32 v3, v5
	v_add_co_u32_e32 v4, vcc, s10, v0
	s_load_dwordx2 s[2:3], s[4:5], 0x0
	v_addc_co_u32_e32 v5, vcc, v6, v1, vcc
	v_lshlrev_b64 v[0:1], 2, v[2:3]
	s_lshl_b64 s[12:13], s[6:7], 2
	v_add_co_u32_e32 v0, vcc, v4, v0
	v_addc_co_u32_e32 v1, vcc, v5, v1, vcc
	global_load_dword v2, v[0:1], off
	v_mov_b32_e32 v4, s13
	v_add_co_u32_e32 v0, vcc, s12, v0
	s_waitcnt lgkmcnt(0)
	global_load_dword v105, v87, s[2:3]
	v_addc_co_u32_e32 v1, vcc, v1, v4, vcc
	global_load_dword v3, v[0:1], off
	global_load_dword v103, v87, s[2:3] offset:324
	v_add_co_u32_e32 v0, vcc, s12, v0
	v_addc_co_u32_e32 v1, vcc, v1, v4, vcc
	global_load_dword v5, v[0:1], off
	global_load_dword v102, v87, s[2:3] offset:648
	v_add_co_u32_e32 v0, vcc, s12, v0
	;; [unrolled: 4-line block ×3, first 2 shown]
	v_addc_co_u32_e32 v1, vcc, v1, v4, vcc
	global_load_dword v7, v[0:1], off
	global_load_dword v100, v87, s[2:3] offset:1296
	v_mov_b32_e32 v8, s3
	v_add_co_u32_e32 v16, vcc, s2, v87
	v_addc_co_u32_e32 v17, vcc, 0, v8, vcc
	v_add_co_u32_e32 v0, vcc, s12, v0
	v_addc_co_u32_e32 v1, vcc, v1, v4, vcc
	s_load_dwordx2 s[6:7], s[4:5], 0x38
	s_load_dwordx4 s[8:11], s[14:15], 0x0
	global_load_dword v99, v87, s[2:3] offset:1620
	global_load_dword v98, v87, s[2:3] offset:1944
	;; [unrolled: 1-line block ×3, first 2 shown]
	global_load_dword v8, v[0:1], off
	v_add_co_u32_e32 v0, vcc, s12, v0
	v_addc_co_u32_e32 v1, vcc, v1, v4, vcc
	global_load_dword v9, v[0:1], off
	v_add_co_u32_e32 v0, vcc, s12, v0
	v_addc_co_u32_e32 v1, vcc, v1, v4, vcc
	s_movk_i32 s14, 0x1000
	s_waitcnt vmcnt(14)
	v_lshrrev_b32_e32 v10, 16, v2
	s_waitcnt vmcnt(13)
	v_mul_f16_sdwa v11, v105, v2 dst_sel:DWORD dst_unused:UNUSED_PAD src0_sel:WORD_1 src1_sel:DWORD
	v_mul_f16_sdwa v12, v105, v10 dst_sel:DWORD dst_unused:UNUSED_PAD src0_sel:WORD_1 src1_sel:DWORD
	v_fma_f16 v10, v105, v10, -v11
	s_waitcnt vmcnt(12)
	v_lshrrev_b32_e32 v11, 16, v3
	s_waitcnt vmcnt(11)
	v_mul_f16_sdwa v13, v103, v3 dst_sel:DWORD dst_unused:UNUSED_PAD src0_sel:WORD_1 src1_sel:DWORD
	v_fma_f16 v2, v105, v2, v12
	v_mul_f16_sdwa v12, v103, v11 dst_sel:DWORD dst_unused:UNUSED_PAD src0_sel:WORD_1 src1_sel:DWORD
	v_fma_f16 v11, v103, v11, -v13
	s_waitcnt vmcnt(10)
	v_lshrrev_b32_e32 v13, 16, v5
	s_waitcnt vmcnt(9)
	v_mul_f16_sdwa v14, v102, v5 dst_sel:DWORD dst_unused:UNUSED_PAD src0_sel:WORD_1 src1_sel:DWORD
	v_pack_b32_f16 v2, v2, v10
	v_fma_f16 v3, v103, v3, v12
	v_mul_f16_sdwa v10, v102, v13 dst_sel:DWORD dst_unused:UNUSED_PAD src0_sel:WORD_1 src1_sel:DWORD
	v_fma_f16 v12, v102, v13, -v14
	v_pack_b32_f16 v3, v3, v11
	v_fma_f16 v5, v102, v5, v10
	ds_write2_b32 v87, v2, v3 offset1:81
	v_pack_b32_f16 v2, v5, v12
	global_load_dword v5, v[0:1], off
	s_waitcnt vmcnt(9)
	v_lshrrev_b32_e32 v13, 16, v6
	s_waitcnt vmcnt(8)
	v_mul_f16_sdwa v14, v101, v6 dst_sel:DWORD dst_unused:UNUSED_PAD src0_sel:WORD_1 src1_sel:DWORD
	v_mul_f16_sdwa v10, v101, v13 dst_sel:DWORD dst_unused:UNUSED_PAD src0_sel:WORD_1 src1_sel:DWORD
	v_fma_f16 v11, v101, v13, -v14
	v_fma_f16 v3, v101, v6, v10
	v_pack_b32_f16 v3, v3, v11
	v_add_co_u32_e32 v0, vcc, s12, v0
	ds_write2_b32 v87, v2, v3 offset0:162 offset1:243
	v_addc_co_u32_e32 v1, vcc, v1, v4, vcc
	global_load_dword v11, v[0:1], off
	global_load_dword v29, v87, s[2:3] offset:2592
	v_add_co_u32_e32 v0, vcc, s12, v0
	v_addc_co_u32_e32 v1, vcc, v1, v4, vcc
	global_load_dword v12, v[0:1], off
	global_load_dword v28, v87, s[2:3] offset:2916
	v_add_co_u32_e32 v0, vcc, s12, v0
	;; [unrolled: 4-line block ×4, first 2 shown]
	v_addc_co_u32_e32 v1, vcc, v1, v4, vcc
	v_add_co_u32_e32 v2, vcc, s12, v0
	global_load_dword v15, v[0:1], off
	global_load_dword v25, v87, s[2:3] offset:3888
	v_addc_co_u32_e32 v3, vcc, v1, v4, vcc
	v_add_co_u32_e32 v0, vcc, s14, v16
	global_load_dword v19, v[2:3], off
	v_addc_co_u32_e32 v1, vcc, 0, v17, vcc
	global_load_dword v24, v[0:1], off offset:116
	v_add_co_u32_e32 v2, vcc, s12, v2
	v_addc_co_u32_e32 v3, vcc, v3, v4, vcc
	global_load_dword v20, v[2:3], off
	global_load_dword v23, v[0:1], off offset:440
	v_add_co_u32_e32 v2, vcc, s12, v2
	v_addc_co_u32_e32 v3, vcc, v3, v4, vcc
	s_waitcnt vmcnt(21)
	v_lshrrev_b32_e32 v6, 16, v7
	global_load_dword v21, v[2:3], off
	global_load_dword v22, v[0:1], off offset:764
	s_waitcnt vmcnt(22)
	v_mul_f16_sdwa v10, v100, v6 dst_sel:DWORD dst_unused:UNUSED_PAD src0_sel:WORD_1 src1_sel:DWORD
	v_fma_f16 v10, v100, v7, v10
	v_mul_f16_sdwa v7, v100, v7 dst_sel:DWORD dst_unused:UNUSED_PAD src0_sel:WORD_1 src1_sel:DWORD
	v_add_co_u32_e32 v2, vcc, s12, v2
	v_fma_f16 v6, v100, v6, -v7
	v_addc_co_u32_e32 v3, vcc, v3, v4, vcc
	v_pack_b32_f16 v6, v10, v6
	global_load_dword v10, v[2:3], off
	global_load_dword v18, v[0:1], off offset:1088
	s_waitcnt vmcnt(20)
	v_lshrrev_b32_e32 v4, 16, v8
	v_mul_f16_sdwa v7, v99, v4 dst_sel:DWORD dst_unused:UNUSED_PAD src0_sel:WORD_1 src1_sel:DWORD
	v_fma_f16 v7, v99, v8, v7
	v_mul_f16_sdwa v8, v99, v8 dst_sel:DWORD dst_unused:UNUSED_PAD src0_sel:WORD_1 src1_sel:DWORD
	v_fma_f16 v4, v99, v4, -v8
	v_pack_b32_f16 v7, v7, v4
	v_add_u32_e32 v4, 0x400, v87
	ds_write2_b32 v4, v6, v7 offset0:68 offset1:149
	s_waitcnt vmcnt(19)
	v_lshrrev_b32_e32 v6, 16, v9
	v_mul_f16_sdwa v7, v98, v6 dst_sel:DWORD dst_unused:UNUSED_PAD src0_sel:WORD_1 src1_sel:DWORD
	v_mul_f16_sdwa v8, v98, v9 dst_sel:DWORD dst_unused:UNUSED_PAD src0_sel:WORD_1 src1_sel:DWORD
	v_fma_f16 v7, v98, v9, v7
	v_fma_f16 v6, v98, v6, -v8
	v_pack_b32_f16 v6, v7, v6
	v_cmp_gt_u16_e32 vcc, 30, v104
	buffer_store_dword v30, off, s[52:55], 0 offset:44 ; 4-byte Folded Spill
	s_waitcnt vmcnt(19)
	v_lshrrev_b32_e32 v7, 16, v5
	v_mul_f16_sdwa v8, v30, v7 dst_sel:DWORD dst_unused:UNUSED_PAD src0_sel:WORD_1 src1_sel:DWORD
	v_fma_f16 v8, v30, v5, v8
	v_mul_f16_sdwa v5, v30, v5 dst_sel:DWORD dst_unused:UNUSED_PAD src0_sel:WORD_1 src1_sel:DWORD
	v_fma_f16 v5, v30, v7, -v5
	v_pack_b32_f16 v7, v8, v5
	v_add_u32_e32 v5, 0x600, v87
	ds_write2_b32 v5, v6, v7 offset0:102 offset1:183
	s_waitcnt vmcnt(18)
	v_lshrrev_b32_e32 v6, 16, v11
	s_waitcnt vmcnt(17)
	v_mul_f16_sdwa v7, v29, v6 dst_sel:DWORD dst_unused:UNUSED_PAD src0_sel:WORD_1 src1_sel:DWORD
	v_mul_f16_sdwa v8, v29, v11 dst_sel:DWORD dst_unused:UNUSED_PAD src0_sel:WORD_1 src1_sel:DWORD
	v_fma_f16 v7, v29, v11, v7
	v_fma_f16 v6, v29, v6, -v8
	v_pack_b32_f16 v7, v7, v6
	s_waitcnt vmcnt(16)
	v_lshrrev_b32_e32 v6, 16, v12
	s_waitcnt vmcnt(15)
	v_mul_f16_sdwa v8, v28, v6 dst_sel:DWORD dst_unused:UNUSED_PAD src0_sel:WORD_1 src1_sel:DWORD
	v_mul_f16_sdwa v9, v28, v12 dst_sel:DWORD dst_unused:UNUSED_PAD src0_sel:WORD_1 src1_sel:DWORD
	v_fma_f16 v8, v28, v12, v8
	v_fma_f16 v6, v28, v6, -v9
	v_pack_b32_f16 v8, v8, v6
	v_add_u32_e32 v6, 0x800, v87
	ds_write2_b32 v6, v7, v8 offset0:136 offset1:217
	s_waitcnt vmcnt(14)
	v_lshrrev_b32_e32 v7, 16, v13
	s_waitcnt vmcnt(13)
	v_mul_f16_sdwa v8, v27, v7 dst_sel:DWORD dst_unused:UNUSED_PAD src0_sel:WORD_1 src1_sel:DWORD
	v_mul_f16_sdwa v9, v27, v13 dst_sel:DWORD dst_unused:UNUSED_PAD src0_sel:WORD_1 src1_sel:DWORD
	v_fma_f16 v8, v27, v13, v8
	v_fma_f16 v7, v27, v7, -v9
	v_pack_b32_f16 v8, v8, v7
	s_waitcnt vmcnt(12)
	v_lshrrev_b32_e32 v7, 16, v14
	s_waitcnt vmcnt(11)
	v_mul_f16_sdwa v9, v26, v7 dst_sel:DWORD dst_unused:UNUSED_PAD src0_sel:WORD_1 src1_sel:DWORD
	v_mul_f16_sdwa v11, v26, v14 dst_sel:DWORD dst_unused:UNUSED_PAD src0_sel:WORD_1 src1_sel:DWORD
	v_fma_f16 v9, v26, v14, v9
	;; [unrolled: 18-line block ×4, first 2 shown]
	v_fma_f16 v9, v22, v9, -v13
	v_pack_b32_f16 v12, v12, v9
	v_add_u32_e32 v9, 0x1000, v87
	ds_write2_b32 v9, v11, v12 offset0:110 offset1:191
	s_waitcnt vmcnt(2)
	v_lshrrev_b32_e32 v11, 16, v10
	s_waitcnt vmcnt(1)
	v_mul_f16_sdwa v12, v18, v11 dst_sel:DWORD dst_unused:UNUSED_PAD src0_sel:WORD_1 src1_sel:DWORD
	v_fma_f16 v12, v18, v10, v12
	v_mul_f16_sdwa v10, v18, v10 dst_sel:DWORD dst_unused:UNUSED_PAD src0_sel:WORD_1 src1_sel:DWORD
	v_fma_f16 v10, v18, v11, -v10
	v_pack_b32_f16 v10, v12, v10
	buffer_store_dword v29, off, s[52:55], 0 offset:40 ; 4-byte Folded Spill
	buffer_store_dword v28, off, s[52:55], 0 offset:36 ; 4-byte Folded Spill
	;; [unrolled: 1-line block ×9, first 2 shown]
	ds_write_b32 v87, v10 offset:5184
	s_and_saveexec_b64 s[14:15], vcc
	s_cbranch_execz .LBB0_3
; %bb.2:
	v_mov_b32_e32 v10, 0xffffec8c
	v_mad_u64_u32 v[2:3], s[16:17], s0, v10, v[2:3]
	s_mulk_i32 s1, 0xec8c
	s_sub_i32 s0, s1, s0
	v_add_u32_e32 v3, s0, v3
	global_load_dword v10, v[2:3], off
	global_load_dword v11, v[16:17], off offset:204
	v_mov_b32_e32 v12, s13
	v_add_co_u32_e64 v2, s[0:1], s12, v2
	v_addc_co_u32_e64 v3, s[0:1], v3, v12, s[0:1]
	global_load_dword v13, v[2:3], off
	global_load_dword v14, v[16:17], off offset:528
	v_add_co_u32_e64 v2, s[0:1], s12, v2
	v_addc_co_u32_e64 v3, s[0:1], v3, v12, s[0:1]
	global_load_dword v15, v[2:3], off
	global_load_dword v19, v[16:17], off offset:852
	;; [unrolled: 4-line block ×3, first 2 shown]
	global_load_dword v22, v[16:17], off offset:1500
	global_load_dword v23, v[16:17], off offset:1824
	;; [unrolled: 1-line block ×4, first 2 shown]
	v_add_co_u32_e64 v2, s[0:1], s12, v2
	v_addc_co_u32_e64 v3, s[0:1], v3, v12, s[0:1]
	global_load_dword v26, v[2:3], off
	v_add_co_u32_e64 v2, s[0:1], s12, v2
	v_addc_co_u32_e64 v3, s[0:1], v3, v12, s[0:1]
	global_load_dword v27, v[2:3], off
	;; [unrolled: 3-line block ×7, first 2 shown]
	v_add_co_u32_e64 v2, s[0:1], s12, v2
	v_addc_co_u32_e64 v3, s[0:1], v3, v12, s[0:1]
	s_waitcnt vmcnt(18)
	v_lshrrev_b32_e32 v33, 16, v10
	s_waitcnt vmcnt(17)
	v_mul_f16_sdwa v34, v11, v10 dst_sel:DWORD dst_unused:UNUSED_PAD src0_sel:WORD_1 src1_sel:DWORD
	v_mul_f16_sdwa v35, v11, v33 dst_sel:DWORD dst_unused:UNUSED_PAD src0_sel:WORD_1 src1_sel:DWORD
	v_fma_f16 v33, v11, v33, -v34
	v_fma_f16 v10, v11, v10, v35
	v_pack_b32_f16 v10, v10, v33
	s_waitcnt vmcnt(16)
	v_lshrrev_b32_e32 v34, 16, v13
	s_waitcnt vmcnt(15)
	v_mul_f16_sdwa v11, v14, v34 dst_sel:DWORD dst_unused:UNUSED_PAD src0_sel:WORD_1 src1_sel:DWORD
	v_mul_f16_sdwa v36, v14, v13 dst_sel:DWORD dst_unused:UNUSED_PAD src0_sel:WORD_1 src1_sel:DWORD
	v_fma_f16 v11, v14, v13, v11
	global_load_dword v13, v[16:17], off offset:2796
	v_fma_f16 v34, v14, v34, -v36
	v_pack_b32_f16 v11, v11, v34
	global_load_dword v34, v[16:17], off offset:3120
	s_waitcnt vmcnt(16)
	v_lshrrev_b32_e32 v35, 16, v15
	s_waitcnt vmcnt(15)
	v_mul_f16_sdwa v36, v19, v15 dst_sel:DWORD dst_unused:UNUSED_PAD src0_sel:WORD_1 src1_sel:DWORD
	v_mul_f16_sdwa v14, v19, v35 dst_sel:DWORD dst_unused:UNUSED_PAD src0_sel:WORD_1 src1_sel:DWORD
	v_fma_f16 v33, v19, v35, -v36
	v_fma_f16 v14, v19, v15, v14
	s_waitcnt vmcnt(14)
	v_lshrrev_b32_e32 v35, 16, v20
	ds_write2_b32 v87, v10, v11 offset0:51 offset1:132
	v_pack_b32_f16 v10, v14, v33
	global_load_dword v14, v[16:17], off offset:3444
	s_waitcnt vmcnt(14)
	v_mul_f16_sdwa v36, v21, v20 dst_sel:DWORD dst_unused:UNUSED_PAD src0_sel:WORD_1 src1_sel:DWORD
	v_mul_f16_sdwa v15, v21, v35 dst_sel:DWORD dst_unused:UNUSED_PAD src0_sel:WORD_1 src1_sel:DWORD
	v_fma_f16 v19, v21, v35, -v36
	v_fma_f16 v11, v21, v20, v15
	v_pack_b32_f16 v11, v11, v19
	global_load_dword v15, v[2:3], off
	global_load_dword v19, v[16:17], off offset:3768
	v_add_co_u32_e64 v2, s[0:1], s12, v2
	v_addc_co_u32_e64 v3, s[0:1], v3, v12, s[0:1]
	global_load_dword v21, v[2:3], off
	global_load_dword v33, v[16:17], off offset:4092
	v_add_co_u32_e64 v2, s[0:1], s12, v2
	v_addc_co_u32_e64 v3, s[0:1], v3, v12, s[0:1]
	global_load_dword v35, v[2:3], off
	global_load_dword v36, v[0:1], off offset:320
	v_add_u32_e32 v20, 0x200, v87
	v_add_co_u32_e64 v2, s[0:1], s12, v2
	ds_write2_b32 v20, v10, v11 offset0:85 offset1:166
	v_addc_co_u32_e64 v3, s[0:1], v3, v12, s[0:1]
	global_load_dword v10, v[2:3], off
	global_load_dword v11, v[0:1], off offset:644
	v_add_co_u32_e64 v2, s[0:1], s12, v2
	v_addc_co_u32_e64 v3, s[0:1], v3, v12, s[0:1]
	global_load_dword v20, v[2:3], off
	global_load_dword v37, v[0:1], off offset:968
	v_add_co_u32_e64 v2, s[0:1], s12, v2
	v_addc_co_u32_e64 v3, s[0:1], v3, v12, s[0:1]
	global_load_dword v12, v[2:3], off
	global_load_dword v39, v[0:1], off offset:1292
	s_waitcnt vmcnt(21)
	v_lshrrev_b32_e32 v38, 16, v26
	v_mul_f16_sdwa v0, v22, v38 dst_sel:DWORD dst_unused:UNUSED_PAD src0_sel:WORD_1 src1_sel:DWORD
	v_mul_f16_sdwa v1, v22, v26 dst_sel:DWORD dst_unused:UNUSED_PAD src0_sel:WORD_1 src1_sel:DWORD
	v_fma_f16 v0, v22, v26, v0
	v_fma_f16 v1, v22, v38, -v1
	v_pack_b32_f16 v0, v0, v1
	s_waitcnt vmcnt(20)
	v_lshrrev_b32_e32 v1, 16, v27
	v_mul_f16_sdwa v2, v23, v1 dst_sel:DWORD dst_unused:UNUSED_PAD src0_sel:WORD_1 src1_sel:DWORD
	v_mul_f16_sdwa v3, v23, v27 dst_sel:DWORD dst_unused:UNUSED_PAD src0_sel:WORD_1 src1_sel:DWORD
	v_fma_f16 v2, v23, v27, v2
	v_fma_f16 v1, v23, v1, -v3
	v_pack_b32_f16 v1, v2, v1
	ds_write2_b32 v4, v0, v1 offset0:119 offset1:200
	s_waitcnt vmcnt(19)
	v_lshrrev_b32_e32 v0, 16, v28
	v_mul_f16_sdwa v1, v24, v0 dst_sel:DWORD dst_unused:UNUSED_PAD src0_sel:WORD_1 src1_sel:DWORD
	v_mul_f16_sdwa v2, v24, v28 dst_sel:DWORD dst_unused:UNUSED_PAD src0_sel:WORD_1 src1_sel:DWORD
	v_fma_f16 v1, v24, v28, v1
	v_fma_f16 v0, v24, v0, -v2
	v_pack_b32_f16 v0, v1, v0
	s_waitcnt vmcnt(18)
	v_lshrrev_b32_e32 v1, 16, v29
	v_mul_f16_sdwa v2, v25, v1 dst_sel:DWORD dst_unused:UNUSED_PAD src0_sel:WORD_1 src1_sel:DWORD
	v_mul_f16_sdwa v3, v25, v29 dst_sel:DWORD dst_unused:UNUSED_PAD src0_sel:WORD_1 src1_sel:DWORD
	v_fma_f16 v2, v25, v29, v2
	v_fma_f16 v1, v25, v1, -v3
	v_pack_b32_f16 v1, v2, v1
	ds_write2_b32 v6, v0, v1 offset0:25 offset1:106
	s_waitcnt vmcnt(17)
	v_lshrrev_b32_e32 v0, 16, v30
	s_waitcnt vmcnt(14)
	v_mul_f16_sdwa v1, v13, v0 dst_sel:DWORD dst_unused:UNUSED_PAD src0_sel:WORD_1 src1_sel:DWORD
	v_mul_f16_sdwa v2, v13, v30 dst_sel:DWORD dst_unused:UNUSED_PAD src0_sel:WORD_1 src1_sel:DWORD
	v_fma_f16 v1, v13, v30, v1
	v_fma_f16 v0, v13, v0, -v2
	v_pack_b32_f16 v0, v1, v0
	v_lshrrev_b32_e32 v1, 16, v31
	s_waitcnt vmcnt(13)
	v_mul_f16_sdwa v2, v34, v1 dst_sel:DWORD dst_unused:UNUSED_PAD src0_sel:WORD_1 src1_sel:DWORD
	v_mul_f16_sdwa v3, v34, v31 dst_sel:DWORD dst_unused:UNUSED_PAD src0_sel:WORD_1 src1_sel:DWORD
	v_fma_f16 v2, v34, v31, v2
	v_fma_f16 v1, v34, v1, -v3
	v_pack_b32_f16 v1, v2, v1
	v_add_u32_e32 v2, 0xa00, v87
	ds_write2_b32 v2, v0, v1 offset0:59 offset1:140
	v_lshrrev_b32_e32 v0, 16, v32
	s_waitcnt vmcnt(12)
	v_mul_f16_sdwa v1, v14, v0 dst_sel:DWORD dst_unused:UNUSED_PAD src0_sel:WORD_1 src1_sel:DWORD
	v_mul_f16_sdwa v2, v14, v32 dst_sel:DWORD dst_unused:UNUSED_PAD src0_sel:WORD_1 src1_sel:DWORD
	v_fma_f16 v1, v14, v32, v1
	v_fma_f16 v0, v14, v0, -v2
	v_pack_b32_f16 v0, v1, v0
	s_waitcnt vmcnt(11)
	v_lshrrev_b32_e32 v1, 16, v15
	s_waitcnt vmcnt(10)
	v_mul_f16_sdwa v2, v19, v1 dst_sel:DWORD dst_unused:UNUSED_PAD src0_sel:WORD_1 src1_sel:DWORD
	v_mul_f16_sdwa v3, v19, v15 dst_sel:DWORD dst_unused:UNUSED_PAD src0_sel:WORD_1 src1_sel:DWORD
	v_fma_f16 v2, v19, v15, v2
	v_fma_f16 v1, v19, v1, -v3
	v_pack_b32_f16 v1, v2, v1
	ds_write2_b32 v7, v0, v1 offset0:93 offset1:174
	s_waitcnt vmcnt(9)
	v_lshrrev_b32_e32 v0, 16, v21
	s_waitcnt vmcnt(8)
	v_mul_f16_sdwa v1, v33, v0 dst_sel:DWORD dst_unused:UNUSED_PAD src0_sel:WORD_1 src1_sel:DWORD
	v_mul_f16_sdwa v2, v33, v21 dst_sel:DWORD dst_unused:UNUSED_PAD src0_sel:WORD_1 src1_sel:DWORD
	v_fma_f16 v1, v33, v21, v1
	v_fma_f16 v0, v33, v0, -v2
	v_pack_b32_f16 v0, v1, v0
	s_waitcnt vmcnt(7)
	v_lshrrev_b32_e32 v1, 16, v35
	s_waitcnt vmcnt(6)
	v_mul_f16_sdwa v2, v36, v1 dst_sel:DWORD dst_unused:UNUSED_PAD src0_sel:WORD_1 src1_sel:DWORD
	v_mul_f16_sdwa v3, v36, v35 dst_sel:DWORD dst_unused:UNUSED_PAD src0_sel:WORD_1 src1_sel:DWORD
	v_fma_f16 v2, v36, v35, v2
	v_fma_f16 v1, v36, v1, -v3
	v_pack_b32_f16 v1, v2, v1
	ds_write2_b32 v8, v0, v1 offset0:127 offset1:208
	s_waitcnt vmcnt(5)
	;; [unrolled: 17-line block ×3, first 2 shown]
	v_lshrrev_b32_e32 v0, 16, v12
	s_waitcnt vmcnt(0)
	v_mul_f16_sdwa v1, v39, v0 dst_sel:DWORD dst_unused:UNUSED_PAD src0_sel:WORD_1 src1_sel:DWORD
	v_mul_f16_sdwa v2, v39, v12 dst_sel:DWORD dst_unused:UNUSED_PAD src0_sel:WORD_1 src1_sel:DWORD
	v_fma_f16 v1, v39, v12, v1
	v_fma_f16 v0, v39, v0, -v2
	v_pack_b32_f16 v0, v1, v0
	ds_write_b32 v87, v0 offset:5388
.LBB0_3:
	s_or_b64 exec, exec, s[14:15]
	s_waitcnt lgkmcnt(0)
	; wave barrier
	s_waitcnt lgkmcnt(0)
	ds_read2_b32 v[23:24], v87 offset1:81
	ds_read2_b32 v[27:28], v87 offset0:162 offset1:243
	ds_read2_b32 v[31:32], v4 offset0:68 offset1:149
	;; [unrolled: 1-line block ×7, first 2 shown]
	ds_read_b32 v79, v87 offset:5184
	s_load_dwordx2 s[4:5], s[4:5], 0x8
	v_mov_b32_e32 v0, 0
                                        ; implicit-def: $vgpr97
                                        ; implicit-def: $vgpr11
                                        ; implicit-def: $vgpr9
                                        ; implicit-def: $vgpr7
                                        ; implicit-def: $vgpr5
                                        ; implicit-def: $vgpr3
                                        ; implicit-def: $vgpr13
                                        ; implicit-def: $vgpr15
                                        ; implicit-def: $vgpr63
	s_and_saveexec_b64 s[0:1], vcc
	s_cbranch_execz .LBB0_5
; %bb.4:
	v_add_u32_e32 v2, 0x200, v87
	ds_read2_b32 v[14:15], v2 offset0:85 offset1:166
	v_add_u32_e32 v2, 0x400, v87
	ds_read2_b32 v[12:13], v2 offset0:119 offset1:200
	v_add_u32_e32 v2, 0x800, v87
	v_add_u32_e32 v4, 0xa00, v87
	;; [unrolled: 1-line block ×5, first 2 shown]
	ds_read2_b32 v[0:1], v87 offset0:51 offset1:132
	ds_read2_b32 v[2:3], v2 offset0:25 offset1:106
	;; [unrolled: 1-line block ×6, first 2 shown]
	ds_read_b32 v97, v87 offset:5388
	s_waitcnt lgkmcnt(0)
	v_alignbit_b32 v63, v14, v14, 16
.LBB0_5:
	s_or_b64 exec, exec, s[0:1]
	v_pk_add_f16 v40, v1, v97 neg_lo:[0,1] neg_hi:[0,1]
	s_mov_b32 s0, 0xbbf7
	v_pk_add_f16 v14, v97, v1
	s_movk_i32 s14, 0x2de8
	v_mul_f16_sdwa v92, v40, s0 dst_sel:DWORD dst_unused:UNUSED_PAD src0_sel:WORD_1 src1_sel:DWORD
	s_mov_b32 s18, 0xbbb2
	v_pk_add_f16 v41, v11, v63 op_sel:[1,0] op_sel_hi:[0,1]
	v_pk_add_f16 v42, v63, v11 op_sel:[1,0] op_sel_hi:[0,1] neg_lo:[0,1] neg_hi:[0,1]
	s_mov_b32 s23, 0xb1e1
	v_fma_f16 v19, v14, s14, v92
	s_mov_b32 s16, 0xb461
	v_mul_f16_sdwa v46, v40, s18 dst_sel:DWORD dst_unused:UNUSED_PAD src0_sel:WORD_1 src1_sel:DWORD
	s_mov_b32 s20, 0xba62
	v_lshrrev_b32_e32 v72, 16, v41
	s_mov_b32 s22, 0xbbdd
	v_mul_f16_sdwa v49, v42, s23 dst_sel:DWORD dst_unused:UNUSED_PAD src0_sel:WORD_1 src1_sel:DWORD
	s_movk_i32 s34, 0x3836
	v_add_f16_e32 v19, v19, v0
	v_fma_f16 v20, v14, s16, v46
	s_mov_b32 s17, 0xb8d2
	v_mul_f16_sdwa v51, v40, s20 dst_sel:DWORD dst_unused:UNUSED_PAD src0_sel:WORD_1 src1_sel:DWORD
	s_mov_b32 s19, 0xbacd
	s_mov_b32 s21, 0xb836
	v_fma_f16 v43, v72, s22, v49
	v_mul_f16_sdwa v53, v42, s34 dst_sel:DWORD dst_unused:UNUSED_PAD src0_sel:WORD_1 src1_sel:DWORD
	s_movk_i32 s29, 0x3bb2
	v_add_f16_e32 v20, v20, v0
	v_fma_f16 v21, v14, s17, v51
	v_mul_f16_sdwa v56, v40, s21 dst_sel:DWORD dst_unused:UNUSED_PAD src0_sel:WORD_1 src1_sel:DWORD
	v_add_f16_e32 v19, v43, v19
	v_fma_f16 v43, v72, s19, v53
	v_mul_f16_sdwa v58, v42, s29 dst_sel:DWORD dst_unused:UNUSED_PAD src0_sel:WORD_1 src1_sel:DWORD
	s_movk_i32 s24, 0x3b29
	s_movk_i32 s13, 0x3722
	v_add_f16_e32 v21, v21, v0
	v_fma_f16 v22, v14, s19, v56
	v_add_f16_e32 v20, v43, v20
	v_fma_f16 v43, v72, s16, v58
	v_mul_f16_sdwa v62, v42, s24 dst_sel:DWORD dst_unused:UNUSED_PAD src0_sel:WORD_1 src1_sel:DWORD
	v_add_f16_e32 v22, v22, v0
	v_add_f16_e32 v21, v43, v21
	v_fma_f16 v43, v72, s13, v62
	v_pk_add_f16 v44, v15, v10 neg_lo:[0,1] neg_hi:[0,1]
	v_add_f16_e32 v22, v43, v22
	v_pk_add_f16 v43, v10, v15
	v_mul_f16_sdwa v54, v44, s29 dst_sel:DWORD dst_unused:UNUSED_PAD src0_sel:WORD_1 src1_sel:DWORD
	s_movk_i32 s25, 0x3964
	s_mov_b32 s1, 0xb5c8
	s_movk_i32 s15, 0x39e9
	v_fma_f16 v45, v43, s16, v54
	v_mul_f16_sdwa v59, v44, s25 dst_sel:DWORD dst_unused:UNUSED_PAD src0_sel:WORD_1 src1_sel:DWORD
	s_movk_i32 s12, 0x3b76
	v_add_f16_e32 v19, v45, v19
	v_fma_f16 v45, v43, s15, v59
	v_mul_f16_sdwa v73, v44, s1 dst_sel:DWORD dst_unused:UNUSED_PAD src0_sel:WORD_1 src1_sel:DWORD
	v_add_f16_e32 v20, v45, v20
	v_fma_f16 v45, v43, s12, v73
	v_pk_add_f16 v47, v12, v9 neg_lo:[0,1] neg_hi:[0,1]
	s_movk_i32 s26, 0x35c8
	s_mov_b32 s28, 0xbb29
	v_add_f16_e32 v21, v45, v21
	v_pk_add_f16 v45, v9, v12
	v_mul_f16_sdwa v96, v47, s26 dst_sel:DWORD dst_unused:UNUSED_PAD src0_sel:WORD_1 src1_sel:DWORD
	v_fma_f16 v48, v45, s12, v96
	v_mul_f16_sdwa v90, v47, s28 dst_sel:DWORD dst_unused:UNUSED_PAD src0_sel:WORD_1 src1_sel:DWORD
	v_add_f16_e32 v19, v48, v19
	v_fma_f16 v48, v45, s13, v90
	v_pk_add_f16 v50, v13, v8 neg_lo:[0,1] neg_hi:[0,1]
	v_add_f16_e32 v20, v48, v20
	v_pk_add_f16 v48, v8, v13
	v_mul_f16_sdwa v91, v50, s28 dst_sel:DWORD dst_unused:UNUSED_PAD src0_sel:WORD_1 src1_sel:DWORD
	v_fma_f16 v52, v48, s13, v91
	v_mul_f16_sdwa v69, v50, s23 dst_sel:DWORD dst_unused:UNUSED_PAD src0_sel:WORD_1 src1_sel:DWORD
	v_add_f16_e32 v19, v52, v19
	v_fma_f16 v52, v48, s22, v69
	v_pk_add_f16 v55, v2, v7 neg_lo:[0,1] neg_hi:[0,1]
	v_add_f16_e32 v20, v52, v20
	s_movk_i32 s27, 0x3bf7
	v_pk_add_f16 v52, v7, v2
	v_mul_f16_sdwa v70, v55, s21 dst_sel:DWORD dst_unused:UNUSED_PAD src0_sel:WORD_1 src1_sel:DWORD
	v_fma_f16 v57, v52, s19, v70
	v_mul_f16_sdwa v71, v55, s27 dst_sel:DWORD dst_unused:UNUSED_PAD src0_sel:WORD_1 src1_sel:DWORD
	s_movk_i32 s33, 0x3a62
	v_add_f16_e32 v19, v57, v19
	v_fma_f16 v57, v52, s14, v71
	v_pk_add_f16 v60, v3, v6 neg_lo:[0,1] neg_hi:[0,1]
	v_add_f16_e32 v20, v57, v20
	v_pk_add_f16 v57, v6, v3
	v_mul_f16_sdwa v74, v60, s33 dst_sel:DWORD dst_unused:UNUSED_PAD src0_sel:WORD_1 src1_sel:DWORD
	v_fma_f16 v64, v57, s17, v74
	v_mul_f16_sdwa v75, v60, s1 dst_sel:DWORD dst_unused:UNUSED_PAD src0_sel:WORD_1 src1_sel:DWORD
	v_add_f16_e32 v19, v64, v19
	v_fma_f16 v64, v57, s12, v75
	v_pk_add_f16 v67, v4, v5 neg_lo:[0,1] neg_hi:[0,1]
	v_add_f16_e32 v78, v64, v20
	v_pk_add_f16 v64, v5, v4
	v_mul_f16_sdwa v76, v67, s25 dst_sel:DWORD dst_unused:UNUSED_PAD src0_sel:WORD_1 src1_sel:DWORD
	v_fma_f16 v20, v64, s15, v76
	v_mul_f16_sdwa v77, v67, s20 dst_sel:DWORD dst_unused:UNUSED_PAD src0_sel:WORD_1 src1_sel:DWORD
	v_add_f16_e32 v20, v20, v19
	v_fma_f16 v19, v64, s17, v77
	v_mul_f16_sdwa v84, v44, s0 dst_sel:DWORD dst_unused:UNUSED_PAD src0_sel:WORD_1 src1_sel:DWORD
	v_add_f16_e32 v19, v19, v78
	;; [unrolled: 3-line block ×3, first 2 shown]
	v_fma_f16 v80, v45, s19, v39
	v_mul_f16_sdwa v85, v47, s33 dst_sel:DWORD dst_unused:UNUSED_PAD src0_sel:WORD_1 src1_sel:DWORD
	v_mul_f16_sdwa v78, v50, s27 dst_sel:DWORD dst_unused:UNUSED_PAD src0_sel:WORD_1 src1_sel:DWORD
	v_add_f16_e32 v21, v80, v21
	v_fma_f16 v80, v45, s17, v85
	v_fma_f16 v81, v48, s14, v78
	v_mul_f16_sdwa v86, v50, s1 dst_sel:DWORD dst_unused:UNUSED_PAD src0_sel:WORD_1 src1_sel:DWORD
	s_mov_b32 s31, 0xb964
	v_add_f16_e32 v22, v80, v22
	v_add_f16_e32 v21, v81, v21
	v_fma_f16 v81, v48, s12, v86
	v_mul_f16_sdwa v80, v55, s31 dst_sel:DWORD dst_unused:UNUSED_PAD src0_sel:WORD_1 src1_sel:DWORD
	v_add_f16_e32 v22, v81, v22
	v_fma_f16 v82, v52, s15, v80
	v_mul_f16_sdwa v88, v55, s23 dst_sel:DWORD dst_unused:UNUSED_PAD src0_sel:WORD_1 src1_sel:DWORD
	v_mul_f16_sdwa v81, v60, s23 dst_sel:DWORD dst_unused:UNUSED_PAD src0_sel:WORD_1 src1_sel:DWORD
	v_add_f16_e32 v21, v82, v21
	v_fma_f16 v82, v52, s22, v88
	v_fma_f16 v83, v57, s22, v81
	v_mul_f16_sdwa v89, v60, s25 dst_sel:DWORD dst_unused:UNUSED_PAD src0_sel:WORD_1 src1_sel:DWORD
	v_add_f16_e32 v22, v82, v22
	v_add_f16_e32 v21, v83, v21
	v_fma_f16 v83, v57, s15, v89
	v_mul_f16_sdwa v82, v67, s24 dst_sel:DWORD dst_unused:UNUSED_PAD src0_sel:WORD_1 src1_sel:DWORD
	v_add_f16_e32 v106, v83, v22
	v_fma_f16 v22, v64, s13, v82
	v_mul_f16_sdwa v66, v67, s18 dst_sel:DWORD dst_unused:UNUSED_PAD src0_sel:WORD_1 src1_sel:DWORD
	v_add_f16_e32 v22, v22, v21
	v_fma_f16 v21, v64, s16, v66
	v_add_f16_e32 v21, v21, v106
	s_waitcnt lgkmcnt(0)
	v_pk_add_f16 v106, v23, v24
	v_pk_add_f16 v106, v106, v27
	;; [unrolled: 1-line block ×8, first 2 shown]
	v_pk_add_f16 v128, v37, v36 neg_lo:[0,1] neg_hi:[0,1]
	v_pk_add_f16 v37, v35, v38
	v_pk_add_f16 v136, v38, v35 neg_lo:[0,1] neg_hi:[0,1]
	v_pk_add_f16 v38, v106, v25
	v_pk_add_f16 v38, v38, v26
	;; [unrolled: 1-line block ×5, first 2 shown]
	v_pk_add_f16 v139, v31, v34 neg_lo:[0,1] neg_hi:[0,1]
	v_pk_add_f16 v31, v33, v32
	v_pk_add_f16 v138, v32, v33 neg_lo:[0,1] neg_hi:[0,1]
	v_pk_add_f16 v32, v36, v33
	v_pk_add_f16 v33, v32, v34
	v_pk_add_f16 v146, v24, v79 neg_lo:[0,1] neg_hi:[0,1]
	v_pk_add_f16 v32, v30, v27
	v_pk_add_f16 v143, v27, v30 neg_lo:[0,1] neg_hi:[0,1]
	;; [unrolled: 2-line block ×3, first 2 shown]
	v_pk_add_f16 v28, v33, v29
	v_pk_add_f16 v145, v79, v24
	v_mul_f16_sdwa v147, v146, s1 dst_sel:DWORD dst_unused:UNUSED_PAD src0_sel:WORD_1 src1_sel:DWORD
	v_pk_add_f16 v144, v28, v30
	v_fma_f16 v24, v145, s12, -v147
	v_mul_f16_sdwa v28, v143, s31 dst_sel:DWORD dst_unused:UNUSED_PAD src0_sel:WORD_1 src1_sel:DWORD
	v_add_f16_e32 v24, v23, v24
	v_fma_f16 v29, v32, s15, -v28
	s_mov_b32 s40, 0x3b7639e9
	v_add_f16_e32 v30, v29, v24
	s_mov_b32 s35, 0xb964b5c8
	v_pk_mul_f16 v24, v145, s40
	v_pk_fma_f16 v148, v146, s35, v24 op_sel:[0,0,1] op_sel_hi:[1,1,0] neg_lo:[1,0,0] neg_hi:[1,0,0]
	v_pk_fma_f16 v149, v146, s35, v24 op_sel:[0,0,1] op_sel_hi:[1,1,0]
	s_mov_b32 s30, 0xffff
	v_bfi_b32 v24, s30, v149, v148
	s_mov_b32 s36, 0x39e92de8
	s_mov_b32 s41, 0xbbf7b964
	v_pk_add_f16 v33, v23, v24 op_sel:[1,0] op_sel_hi:[0,1]
	v_pk_mul_f16 v24, v32, s36
	v_pk_fma_f16 v29, v143, s41, v24 op_sel:[0,0,1] op_sel_hi:[1,1,0] neg_lo:[1,0,0] neg_hi:[1,0,0]
	v_pk_fma_f16 v24, v143, s41, v24 op_sel:[0,0,1] op_sel_hi:[1,1,0]
	v_bfi_b32 v34, s30, v24, v29
	v_lshrrev_b32_e32 v150, 16, v145
	v_mul_f16_e32 v151, 0xb964, v146
	v_pk_add_f16 v34, v34, v33
	v_fma_f16 v33, v150, s15, v151
	v_lshrrev_b32_e32 v108, 16, v32
	v_mul_f16_e32 v109, 0xbbf7, v143
	v_add_f16_sdwa v33, v23, v33 dst_sel:DWORD dst_unused:UNUSED_PAD src0_sel:WORD_1 src1_sel:DWORD
	v_fma_f16 v36, v108, s14, v109
	v_add_f16_e32 v36, v36, v33
	v_mul_f16_sdwa v33, v142, s28 dst_sel:DWORD dst_unused:UNUSED_PAD src0_sel:WORD_1 src1_sel:DWORD
	s_mov_b32 s43, 0x3722b8d2
	v_fma_f16 v38, v27, s13, -v33
	s_mov_b32 s36, 0xba62bb29
	v_pk_mul_f16 v106, v27, s43
	v_add_f16_e32 v38, v38, v30
	v_pk_fma_f16 v30, v142, s36, v106 op_sel:[0,0,1] op_sel_hi:[1,1,0] neg_lo:[1,0,0] neg_hi:[1,0,0]
	v_pk_fma_f16 v111, v142, s36, v106 op_sel:[0,0,1] op_sel_hi:[1,1,0]
	v_bfi_b32 v106, s30, v111, v30
	v_lshrrev_b32_e32 v110, 16, v27
	v_mul_f16_e32 v112, 0xba62, v142
	v_pk_add_f16 v106, v106, v34
	v_fma_f16 v34, v110, s17, v112
	v_add_f16_e32 v115, v34, v36
	v_mul_f16_sdwa v36, v139, s0 dst_sel:DWORD dst_unused:UNUSED_PAD src0_sel:WORD_1 src1_sel:DWORD
	s_mov_b32 s44, 0x2de8bbdd
	v_fma_f16 v34, v35, s14, -v36
	s_mov_b32 s37, 0xb1e1bbf7
	v_pk_mul_f16 v113, v35, s44
	v_add_f16_e32 v38, v34, v38
	v_pk_fma_f16 v34, v139, s37, v113 op_sel:[0,0,1] op_sel_hi:[1,1,0] neg_lo:[1,0,0] neg_hi:[1,0,0]
	v_pk_fma_f16 v114, v139, s37, v113 op_sel:[0,0,1] op_sel_hi:[1,1,0]
	v_bfi_b32 v113, s30, v114, v34
	v_pk_add_f16 v106, v113, v106
	v_lshrrev_b32_e32 v113, 16, v35
	v_mul_f16_e32 v124, 0xb1e1, v139
	v_fma_f16 v119, v113, s22, v124
	v_add_f16_e32 v119, v119, v115
	v_mul_f16_sdwa v115, v138, s18 dst_sel:DWORD dst_unused:UNUSED_PAD src0_sel:WORD_1 src1_sel:DWORD
	v_fma_f16 v120, v31, s16, -v115
	s_mov_b32 s45, 0xb461bacd
	v_add_f16_e32 v121, v120, v38
	s_mov_b32 s38, 0x3836bbb2
	v_pk_mul_f16 v120, v31, s45
	v_pk_fma_f16 v38, v138, s38, v120 op_sel:[0,0,1] op_sel_hi:[1,1,0] neg_lo:[1,0,0] neg_hi:[1,0,0]
	v_pk_fma_f16 v126, v138, s38, v120 op_sel:[0,0,1] op_sel_hi:[1,1,0]
	v_bfi_b32 v120, s30, v126, v38
	v_lshrrev_b32_e32 v125, 16, v31
	v_mul_f16_e32 v129, 0x3836, v138
	v_pk_add_f16 v106, v120, v106
	v_fma_f16 v120, v125, s19, v129
	v_add_f16_e32 v122, v120, v119
	v_mul_f16_sdwa v120, v128, s20 dst_sel:DWORD dst_unused:UNUSED_PAD src0_sel:WORD_1 src1_sel:DWORD
	s_mov_b32 s46, 0xb8d2b461
	v_fma_f16 v119, v107, s17, -v120
	s_mov_b32 s39, 0x3bb2ba62
	v_pk_mul_f16 v123, v107, s46
	v_add_f16_e32 v121, v119, v121
	v_pk_fma_f16 v119, v128, s39, v123 op_sel:[0,0,1] op_sel_hi:[1,1,0] neg_lo:[1,0,0] neg_hi:[1,0,0]
	v_pk_fma_f16 v131, v128, s39, v123 op_sel:[0,0,1] op_sel_hi:[1,1,0]
	v_bfi_b32 v123, s30, v131, v119
	v_lshrrev_b32_e32 v130, 16, v107
	v_mul_f16_e32 v132, 0x3bb2, v128
	v_pk_add_f16 v106, v123, v106
	v_fma_f16 v123, v130, s16, v132
	v_add_f16_e32 v123, v123, v122
	v_mul_f16_sdwa v122, v136, s21 dst_sel:DWORD dst_unused:UNUSED_PAD src0_sel:WORD_1 src1_sel:DWORD
	v_fma_f16 v127, v37, s19, -v122
	s_mov_b32 s47, 0xbacd3722
	v_add_f16_e32 v137, v127, v121
	s_mov_b32 s42, 0x3b29b836
	v_pk_mul_f16 v127, v37, s47
	v_pk_fma_f16 v121, v136, s42, v127 op_sel:[0,0,1] op_sel_hi:[1,1,0] neg_lo:[1,0,0] neg_hi:[1,0,0]
	v_pk_fma_f16 v127, v136, s42, v127 op_sel:[0,0,1] op_sel_hi:[1,1,0]
	v_bfi_b32 v133, s30, v127, v121
	v_pk_add_f16 v106, v133, v106
	v_lshrrev_b32_e32 v133, 16, v37
	v_mul_f16_e32 v134, 0x3b29, v136
	v_fma_f16 v135, v133, s13, v134
	v_add_f16_e32 v152, v135, v123
	v_pk_add_f16 v135, v25, v26 neg_lo:[0,1] neg_hi:[0,1]
	v_pk_add_f16 v123, v26, v25
	v_mul_f16_sdwa v25, v135, s23 dst_sel:DWORD dst_unused:UNUSED_PAD src0_sel:WORD_1 src1_sel:DWORD
	v_fma_f16 v26, v123, s22, -v25
	s_mov_b32 s49, 0xbbdd3b76
	v_add_f16_e32 v153, v26, v137
	s_mov_b32 s48, 0x35c8b1e1
	v_pk_mul_f16 v137, v123, s49
	v_pk_fma_f16 v26, v135, s48, v137 op_sel:[0,0,1] op_sel_hi:[1,1,0] neg_lo:[1,0,0] neg_hi:[1,0,0]
	v_pk_fma_f16 v140, v135, s48, v137 op_sel:[0,0,1] op_sel_hi:[1,1,0]
	v_bfi_b32 v140, s30, v140, v26
	v_pk_add_f16 v106, v140, v106
	v_lshrrev_b32_e32 v140, 16, v123
	v_mul_f16_e32 v141, 0x35c8, v135
	v_fma_f16 v154, v140, s12, v141
	v_add_f16_e32 v152, v154, v152
	v_alignbit_b32 v152, v152, v106, 16
	v_pack_b32_f16 v153, v153, v106
	v_mul_lo_u16_e32 v106, 17, v104
	v_lshlrev_b32_e32 v106, 2, v106
	s_waitcnt lgkmcnt(0)
	; wave barrier
	ds_write2_b32 v106, v153, v152 offset0:1 offset1:2
	v_mul_f16_sdwa v152, v146, s28 dst_sel:DWORD dst_unused:UNUSED_PAD src0_sel:WORD_1 src1_sel:DWORD
	v_fma_f16 v153, v145, s13, -v152
	v_mul_f16_sdwa v154, v143, s20 dst_sel:DWORD dst_unused:UNUSED_PAD src0_sel:WORD_1 src1_sel:DWORD
	v_add_f16_e32 v153, v23, v153
	v_fma_f16 v155, v32, s17, -v154
	v_add_f16_e32 v153, v155, v153
	v_mul_f16_e32 v155, 0xbb29, v146
	v_fma_f16 v156, v150, s13, v155
	v_mul_f16_e32 v157, 0xba62, v143
	v_add_f16_sdwa v156, v23, v156 dst_sel:DWORD dst_unused:UNUSED_PAD src0_sel:WORD_1 src1_sel:DWORD
	v_fma_f16 v158, v108, s17, v157
	v_add_f16_e32 v156, v158, v156
	v_mul_f16_sdwa v158, v146, s0 dst_sel:DWORD dst_unused:UNUSED_PAD src0_sel:WORD_1 src1_sel:DWORD
	v_fma_f16 v159, v145, s14, -v158
	v_mul_f16_sdwa v160, v143, s23 dst_sel:DWORD dst_unused:UNUSED_PAD src0_sel:WORD_1 src1_sel:DWORD
	v_add_f16_e32 v159, v23, v159
	v_fma_f16 v161, v32, s22, -v160
	v_add_f16_e32 v159, v161, v159
	v_mul_f16_e32 v161, 0xbbf7, v146
	v_fma_f16 v162, v150, s14, v161
	v_mul_f16_e32 v163, 0xb1e1, v143
	v_add_f16_sdwa v162, v23, v162 dst_sel:DWORD dst_unused:UNUSED_PAD src0_sel:WORD_1 src1_sel:DWORD
	v_fma_f16 v164, v108, s22, v163
	s_movk_i32 s50, 0x31e1
	v_add_f16_e32 v162, v164, v162
	v_mul_f16_sdwa v164, v142, s50 dst_sel:DWORD dst_unused:UNUSED_PAD src0_sel:WORD_1 src1_sel:DWORD
	v_fma_f16 v165, v27, s22, -v164
	v_add_f16_e32 v153, v165, v153
	v_mul_f16_e32 v165, 0x31e1, v142
	v_fma_f16 v166, v110, s22, v165
	v_add_f16_e32 v156, v166, v156
	v_mul_f16_sdwa v166, v142, s29 dst_sel:DWORD dst_unused:UNUSED_PAD src0_sel:WORD_1 src1_sel:DWORD
	v_fma_f16 v167, v27, s16, -v166
	v_add_f16_e32 v159, v167, v159
	v_mul_f16_e32 v167, 0x3bb2, v142
	v_fma_f16 v168, v110, s16, v167
	;; [unrolled: 6-line block ×12, first 2 shown]
	v_add_f16_e32 v162, v188, v162
	v_pack_b32_f16 v159, v159, v162
	v_pack_b32_f16 v153, v153, v156
	ds_write2_b32 v106, v153, v159 offset0:3 offset1:4
	v_mul_f16_sdwa v153, v146, s18 dst_sel:DWORD dst_unused:UNUSED_PAD src0_sel:WORD_1 src1_sel:DWORD
	v_fma_f16 v156, v145, s16, -v153
	v_mul_f16_sdwa v159, v143, s34 dst_sel:DWORD dst_unused:UNUSED_PAD src0_sel:WORD_1 src1_sel:DWORD
	v_add_f16_e32 v156, v23, v156
	v_fma_f16 v162, v32, s19, -v159
	v_add_f16_e32 v156, v162, v156
	v_mul_f16_e32 v162, 0xbbb2, v146
	v_fma_f16 v188, v150, s16, v162
	v_mul_f16_e32 v189, 0x3836, v143
	v_add_f16_sdwa v188, v23, v188 dst_sel:DWORD dst_unused:UNUSED_PAD src0_sel:WORD_1 src1_sel:DWORD
	v_fma_f16 v190, v108, s19, v189
	v_add_f16_e32 v188, v190, v188
	v_mul_f16_sdwa v190, v146, s20 dst_sel:DWORD dst_unused:UNUSED_PAD src0_sel:WORD_1 src1_sel:DWORD
	v_fma_f16 v191, v145, s17, -v190
	v_mul_f16_sdwa v192, v143, s29 dst_sel:DWORD dst_unused:UNUSED_PAD src0_sel:WORD_1 src1_sel:DWORD
	v_add_f16_e32 v191, v23, v191
	v_fma_f16 v193, v32, s16, -v192
	v_add_f16_e32 v191, v193, v191
	v_mul_f16_e32 v193, 0xba62, v146
	v_fma_f16 v194, v150, s17, v193
	v_mul_f16_e32 v195, 0x3bb2, v143
	v_add_f16_sdwa v194, v23, v194 dst_sel:DWORD dst_unused:UNUSED_PAD src0_sel:WORD_1 src1_sel:DWORD
	v_fma_f16 v196, v108, s16, v195
	v_add_f16_e32 v194, v196, v194
	v_mul_f16_sdwa v196, v142, s25 dst_sel:DWORD dst_unused:UNUSED_PAD src0_sel:WORD_1 src1_sel:DWORD
	v_fma_f16 v197, v27, s15, -v196
	v_add_f16_e32 v156, v197, v156
	v_mul_f16_e32 v197, 0x3964, v142
	v_fma_f16 v198, v110, s15, v197
	v_add_f16_e32 v188, v198, v188
	v_mul_f16_sdwa v198, v142, s1 dst_sel:DWORD dst_unused:UNUSED_PAD src0_sel:WORD_1 src1_sel:DWORD
	v_fma_f16 v199, v27, s12, -v198
	v_add_f16_e32 v191, v199, v191
	v_mul_f16_e32 v199, 0xb5c8, v142
	;; [unrolled: 6-line block ×12, first 2 shown]
	v_fma_f16 v220, v140, s13, v219
	v_add_f16_e32 v194, v220, v194
	v_pack_b32_f16 v191, v191, v194
	v_pack_b32_f16 v156, v156, v188
	v_pk_add_f16 v79, v144, v79
	v_mul_f16_sdwa v144, v146, s21 dst_sel:DWORD dst_unused:UNUSED_PAD src0_sel:WORD_1 src1_sel:DWORD
	ds_write2_b32 v106, v156, v191 offset0:5 offset1:6
	v_fma_f16 v156, v145, s19, -v144
	v_mul_f16_sdwa v188, v143, s24 dst_sel:DWORD dst_unused:UNUSED_PAD src0_sel:WORD_1 src1_sel:DWORD
	v_add_f16_e32 v156, v23, v156
	v_fma_f16 v191, v32, s13, -v188
	v_add_f16_e32 v156, v191, v156
	v_mul_f16_e32 v191, 0xb836, v146
	v_fma_f16 v194, v150, s19, v191
	v_mul_f16_e32 v220, 0x3b29, v143
	v_add_f16_sdwa v194, v23, v194 dst_sel:DWORD dst_unused:UNUSED_PAD src0_sel:WORD_1 src1_sel:DWORD
	v_fma_f16 v221, v108, s13, v220
	v_add_f16_e32 v194, v221, v194
	v_mul_f16_sdwa v221, v142, s0 dst_sel:DWORD dst_unused:UNUSED_PAD src0_sel:WORD_1 src1_sel:DWORD
	v_fma_f16 v222, v27, s14, -v221
	v_add_f16_e32 v156, v222, v156
	v_mul_f16_e32 v222, 0xbbf7, v142
	v_fma_f16 v223, v110, s14, v222
	v_add_f16_e32 v194, v223, v194
	v_mul_f16_sdwa v223, v139, s33 dst_sel:DWORD dst_unused:UNUSED_PAD src0_sel:WORD_1 src1_sel:DWORD
	v_fma_f16 v224, v35, s17, -v223
	v_add_f16_e32 v156, v224, v156
	v_mul_f16_e32 v224, 0x3a62, v139
	;; [unrolled: 6-line block ×6, first 2 shown]
	v_fma_f16 v233, v140, s16, v232
	v_add_f16_e32 v194, v233, v194
	v_pack_b32_f16 v156, v156, v194
	ds_write2_b32 v106, v79, v156 offset1:7
	v_fma_f16 v156, v150, s16, -v162
	v_fma_f16 v147, v145, s12, v147
	v_fma_f16 v152, v145, s13, v152
	;; [unrolled: 1-line block ×6, first 2 shown]
	v_pk_mul_f16 v145, v145, s22 op_sel_hi:[1,0]
	v_fma_f16 v79, v150, s15, -v151
	v_fma_f16 v151, v150, s13, -v155
	;; [unrolled: 1-line block ×5, first 2 shown]
	v_pk_fma_f16 v190, v146, s23, v145 op_sel:[0,0,1] op_sel_hi:[1,0,0] neg_lo:[1,0,0] neg_hi:[1,0,0]
	v_pk_fma_f16 v145, v146, s23, v145 op_sel:[0,0,1] op_sel_hi:[1,0,0]
	v_add_f16_e32 v233, v23, v147
	v_pk_add_f16 v146, v23, v149 op_sel:[1,0] op_sel_hi:[0,1]
	v_add_f16_sdwa v79, v23, v79 dst_sel:DWORD dst_unused:UNUSED_PAD src0_sel:WORD_1 src1_sel:DWORD
	v_add_f16_e32 v147, v23, v152
	v_add_f16_sdwa v149, v23, v151 dst_sel:DWORD dst_unused:UNUSED_PAD src0_sel:WORD_1 src1_sel:DWORD
	v_add_f16_e32 v151, v23, v158
	;; [unrolled: 2-line block ×5, first 2 shown]
	v_add_f16_sdwa v150, v23, v150 dst_sel:DWORD dst_unused:UNUSED_PAD src0_sel:WORD_1 src1_sel:DWORD
	v_add_f16_sdwa v234, v23, v148 dst_sel:DWORD dst_unused:UNUSED_PAD src0_sel:WORD_1 src1_sel:DWORD
	v_pk_add_f16 v148, v23, v190 op_sel:[1,0] op_sel_hi:[0,1]
	v_pk_add_f16 v23, v23, v145 op_sel:[1,0] op_sel_hi:[0,1]
	v_pk_mul_f16 v145, v32, s12 op_sel_hi:[1,0]
	v_pk_fma_f16 v161, v143, s26, v145 op_sel:[0,0,1] op_sel_hi:[1,0,0] neg_lo:[1,0,0] neg_hi:[1,0,0]
	v_pk_fma_f16 v143, v143, s26, v145 op_sel:[0,0,1] op_sel_hi:[1,0,0]
	v_pk_add_f16 v23, v143, v23
	v_pk_mul_f16 v143, v27, s19 op_sel_hi:[1,0]
	v_pk_fma_f16 v145, v142, s21, v143 op_sel:[0,0,1] op_sel_hi:[1,0,0] neg_lo:[1,0,0] neg_hi:[1,0,0]
	v_pk_fma_f16 v142, v142, s21, v143 op_sel:[0,0,1] op_sel_hi:[1,0,0]
	v_pk_add_f16 v23, v142, v23
	;; [unrolled: 4-line block ×4, first 2 shown]
	v_pk_add_f16 v23, v138, v23
	v_pk_mul_f16 v138, v107, s13 op_sel_hi:[1,0]
	v_pk_add_f16 v145, v145, v148
	v_pk_fma_f16 v139, v128, s24, v138 op_sel:[0,0,1] op_sel_hi:[1,0,0] neg_lo:[1,0,0] neg_hi:[1,0,0]
	v_pk_fma_f16 v128, v128, s24, v138 op_sel:[0,0,1] op_sel_hi:[1,0,0]
	v_pk_add_f16 v143, v143, v145
	v_pk_add_f16 v23, v128, v23
	v_pk_mul_f16 v128, v37, s16 op_sel_hi:[1,0]
	v_pk_add_f16 v142, v142, v143
	v_pk_fma_f16 v138, v136, s18, v128 op_sel:[0,0,1] op_sel_hi:[1,0,0] neg_lo:[1,0,0] neg_hi:[1,0,0]
	v_pk_fma_f16 v128, v136, s18, v128 op_sel:[0,0,1] op_sel_hi:[1,0,0]
	v_pk_add_f16 v139, v139, v142
	v_pk_add_f16 v23, v128, v23
	v_pk_mul_f16 v128, v123, s14 op_sel_hi:[1,0]
	v_pk_add_f16 v138, v138, v139
	v_pk_fma_f16 v136, v135, s27, v128 op_sel:[0,0,1] op_sel_hi:[1,0,0] neg_lo:[1,0,0] neg_hi:[1,0,0]
	v_pk_fma_f16 v128, v135, s27, v128 op_sel:[0,0,1] op_sel_hi:[1,0,0]
	v_pk_add_f16 v136, v136, v138
	v_pk_add_f16 v23, v128, v23
	v_alignbit_b32 v128, v136, v23, 16
	v_alignbit_b32 v23, v23, v136, 16
	ds_write2_b32 v106, v23, v128 offset0:8 offset1:9
	v_fma_f16 v23, v32, s16, v192
	v_add_f16_e32 v23, v23, v156
	v_fma_f16 v128, v108, s16, -v195
	v_fma_f16 v139, v27, s12, v198
	v_add_f16_e32 v128, v128, v158
	v_fma_f16 v136, v32, s13, v188
	v_add_f16_e32 v23, v139, v23
	v_fma_f16 v139, v110, s12, -v199
	v_add_f16_e32 v136, v136, v144
	v_fma_f16 v138, v108, s13, -v220
	v_add_f16_e32 v128, v139, v128
	v_fma_f16 v139, v27, s14, v221
	v_add_f16_e32 v138, v138, v150
	v_add_f16_e32 v136, v139, v136
	v_fma_f16 v139, v110, s14, -v222
	v_add_f16_e32 v138, v139, v138
	v_fma_f16 v139, v35, s19, v202
	v_add_f16_e32 v23, v139, v23
	v_fma_f16 v139, v113, s19, -v203
	v_add_f16_e32 v128, v139, v128
	v_fma_f16 v139, v35, s17, v223
	;; [unrolled: 4-line block ×10, first 2 shown]
	v_add_f16_e32 v136, v139, v136
	v_fma_f16 v139, v140, s16, -v232
	v_add_f16_e32 v138, v139, v138
	v_pack_b32_f16 v23, v23, v128
	v_pack_b32_f16 v128, v136, v138
	ds_write2_b32 v106, v128, v23 offset0:10 offset1:11
	v_fma_f16 v23, v32, s22, v160
	v_add_f16_e32 v23, v23, v151
	v_fma_f16 v128, v108, s22, -v163
	v_fma_f16 v139, v27, s16, v166
	v_add_f16_e32 v128, v128, v152
	v_fma_f16 v136, v32, s19, v159
	v_add_f16_e32 v23, v139, v23
	v_fma_f16 v139, v110, s16, -v167
	v_add_f16_e32 v136, v136, v153
	v_fma_f16 v138, v108, s19, -v189
	v_add_f16_e32 v128, v139, v128
	v_fma_f16 v139, v27, s15, v196
	v_add_f16_e32 v138, v138, v155
	v_add_f16_e32 v136, v139, v136
	v_fma_f16 v139, v110, s15, -v197
	v_add_f16_e32 v138, v139, v138
	v_fma_f16 v139, v35, s12, v170
	v_add_f16_e32 v23, v139, v23
	v_fma_f16 v139, v113, s12, -v171
	v_add_f16_e32 v128, v139, v128
	v_fma_f16 v139, v35, s13, v200
	;; [unrolled: 4-line block ×10, first 2 shown]
	v_add_f16_e32 v136, v139, v136
	v_fma_f16 v139, v140, s17, -v217
	v_add_f16_e32 v138, v139, v138
	v_pack_b32_f16 v23, v23, v128
	v_pack_b32_f16 v128, v136, v138
	ds_write2_b32 v106, v128, v23 offset0:12 offset1:13
	v_pk_add_f16 v23, v24, v146
	v_fma_f16 v24, v108, s14, -v109
	v_add_f16_e32 v24, v24, v79
	v_fma_f16 v79, v32, s17, v154
	v_fma_f16 v109, v110, s17, -v112
	v_add_f16_e32 v79, v79, v147
	v_fma_f16 v108, v108, s17, -v157
	v_add_f16_e32 v24, v109, v24
	v_fma_f16 v109, v27, s22, v164
	v_add_f16_e32 v108, v108, v149
	v_add_f16_e32 v79, v109, v79
	v_fma_f16 v109, v110, s22, -v165
	v_add_f16_e32 v108, v109, v108
	v_fma_f16 v109, v113, s22, -v124
	v_add_f16_e32 v24, v109, v24
	v_fma_f16 v109, v35, s16, v168
	v_add_f16_e32 v79, v109, v79
	v_fma_f16 v109, v113, s16, -v169
	v_add_f16_e32 v108, v109, v108
	v_fma_f16 v109, v125, s19, -v129
	v_add_f16_e32 v24, v109, v24
	v_fma_f16 v109, v31, s15, v172
	;; [unrolled: 6-line block ×4, first 2 shown]
	v_fma_f16 v110, v140, s12, -v141
	v_pk_add_f16 v23, v111, v23
	v_add_f16_e32 v79, v109, v79
	v_add_f16_e32 v24, v110, v24
	v_fma_f16 v110, v123, s19, v184
	v_pk_add_f16 v23, v114, v23
	v_fma_f16 v109, v133, s14, -v181
	v_add_f16_e32 v79, v110, v79
	v_pk_mul_f16 v110, v135, s48
	v_pk_add_f16 v23, v126, v23
	v_pack_b32_f16 v109, v109, v137
	v_bfi_b32 v108, s30, v108, v110
	v_pk_add_f16 v23, v131, v23
	v_pk_add_f16 v108, v109, v108
	v_mul_f16_e32 v109, 0xb836, v135
	v_bfi_b32 v109, s30, v109, v23
	v_pk_add_f16 v109, v185, v109 neg_lo:[0,1] neg_hi:[0,1]
	v_pk_add_f16 v23, v127, v23
	v_bfi_b32 v23, s30, v109, v23
	v_pk_add_f16 v23, v23, v108
	v_alignbit_b32 v24, v24, v23, 16
	v_pack_b32_f16 v23, v79, v23
	v_mul_f16_sdwa v124, v40, s1 dst_sel:DWORD dst_unused:UNUSED_PAD src0_sel:WORD_1 src1_sel:DWORD
	ds_write2_b32 v106, v23, v24 offset0:14 offset1:15
	v_fma_f16 v23, v14, s12, v124
	v_mul_f16_sdwa v125, v42, s31 dst_sel:DWORD dst_unused:UNUSED_PAD src0_sel:WORD_1 src1_sel:DWORD
	v_add_f16_e32 v23, v23, v0
	v_fma_f16 v24, v72, s15, v125
	v_lshrrev_b32_e32 v189, 16, v14
	v_mul_f16_e32 v126, 0xb964, v40
	v_add_f16_e32 v23, v24, v23
	v_fma_f16 v24, v189, s15, -v126
	v_mul_f16_e32 v127, 0xbbf7, v42
	v_add_f16_sdwa v24, v24, v0 dst_sel:DWORD dst_unused:UNUSED_PAD src0_sel:DWORD src1_sel:WORD_1
	v_fma_f16 v79, v41, s14, -v127
	v_mul_f16_sdwa v129, v40, s28 dst_sel:DWORD dst_unused:UNUSED_PAD src0_sel:WORD_1 src1_sel:DWORD
	v_add_f16_e32 v24, v79, v24
	v_fma_f16 v79, v14, s13, v129
	v_mul_f16_sdwa v130, v42, s20 dst_sel:DWORD dst_unused:UNUSED_PAD src0_sel:WORD_1 src1_sel:DWORD
	v_add_f16_e32 v79, v79, v0
	v_fma_f16 v108, v72, s17, v130
	v_mul_f16_e32 v133, 0xbb29, v40
	v_add_f16_e32 v79, v108, v79
	v_fma_f16 v108, v189, s13, -v133
	v_mul_f16_e32 v134, 0xba62, v42
	v_add_f16_sdwa v108, v108, v0 dst_sel:DWORD dst_unused:UNUSED_PAD src0_sel:DWORD src1_sel:WORD_1
	v_fma_f16 v109, v41, s17, -v134
	v_mul_f16_e32 v139, 0xbbf7, v40
	v_add_f16_e32 v108, v109, v108
	v_fma_f16 v109, v189, s14, -v139
	v_mul_f16_e32 v140, 0xb1e1, v42
	v_add_f16_sdwa v109, v109, v0 dst_sel:DWORD dst_unused:UNUSED_PAD src0_sel:DWORD src1_sel:WORD_1
	v_fma_f16 v110, v41, s22, -v140
	;; [unrolled: 6-line block ×5, first 2 shown]
	v_mul_f16_sdwa v128, v44, s28 dst_sel:DWORD dst_unused:UNUSED_PAD src0_sel:WORD_1 src1_sel:DWORD
	v_add_f16_e32 v112, v113, v112
	v_fma_f16 v113, v43, s13, v128
	v_lshrrev_b32_e32 v192, 16, v43
	v_mul_f16_e32 v132, 0xba62, v44
	v_add_f16_e32 v23, v113, v23
	v_fma_f16 v113, v192, s17, -v132
	v_mul_f16_sdwa v136, v44, s50 dst_sel:DWORD dst_unused:UNUSED_PAD src0_sel:WORD_1 src1_sel:DWORD
	v_add_f16_e32 v24, v113, v24
	v_fma_f16 v113, v43, s22, v136
	v_mul_f16_e32 v138, 0x31e1, v44
	v_add_f16_e32 v79, v113, v79
	v_fma_f16 v113, v192, s22, -v138
	v_mul_f16_e32 v148, 0x3bb2, v44
	v_add_f16_e32 v108, v113, v108
	v_fma_f16 v113, v192, s16, -v148
	v_mul_f16_e32 v157, 0x3964, v44
	v_add_f16_e32 v109, v113, v109
	v_fma_f16 v113, v192, s15, -v157
	v_mul_f16_e32 v173, 0xb5c8, v44
	v_add_f16_e32 v110, v113, v110
	v_fma_f16 v113, v192, s12, -v173
	v_mul_f16_e32 v184, 0xbbf7, v44
	v_add_f16_e32 v111, v113, v111
	v_fma_f16 v113, v192, s14, -v184
	v_mul_f16_sdwa v131, v47, s0 dst_sel:DWORD dst_unused:UNUSED_PAD src0_sel:WORD_1 src1_sel:DWORD
	v_add_f16_e32 v112, v113, v112
	v_fma_f16 v113, v45, s14, v131
	v_lshrrev_b32_e32 v195, 16, v45
	v_mul_f16_e32 v137, 0xb1e1, v47
	v_add_f16_e32 v23, v113, v23
	v_fma_f16 v113, v195, s22, -v137
	v_mul_f16_sdwa v142, v47, s29 dst_sel:DWORD dst_unused:UNUSED_PAD src0_sel:WORD_1 src1_sel:DWORD
	v_add_f16_e32 v24, v113, v24
	v_fma_f16 v113, v45, s16, v142
	v_mul_f16_e32 v144, 0x3bb2, v47
	v_add_f16_e32 v79, v113, v79
	v_fma_f16 v113, v195, s16, -v144
	v_mul_f16_e32 v155, 0x35c8, v47
	v_add_f16_e32 v108, v113, v108
	v_fma_f16 v113, v195, s12, -v155
	v_mul_f16_e32 v170, 0xbb29, v47
	v_add_f16_e32 v109, v113, v109
	v_fma_f16 v113, v195, s13, -v170
	v_mul_f16_e32 v178, 0xb836, v47
	v_add_f16_e32 v110, v113, v110
	v_fma_f16 v113, v195, s19, -v178
	v_mul_f16_e32 v186, 0x3a62, v47
	v_add_f16_e32 v111, v113, v111
	v_fma_f16 v113, v195, s17, -v186
	;; [unrolled: 25-line block ×4, first 2 shown]
	v_mul_f16_sdwa v145, v60, s21 dst_sel:DWORD dst_unused:UNUSED_PAD src0_sel:WORD_1 src1_sel:DWORD
	v_fma_f16 v28, v32, s15, v28
	v_add_f16_e32 v112, v113, v112
	v_fma_f16 v113, v57, s19, v145
	v_lshrrev_b32_e32 v198, 16, v57
	v_mul_f16_e32 v154, 0x3b29, v60
	v_add_f16_e32 v28, v28, v233
	v_fma_f16 v27, v27, s13, v33
	v_add_f16_e32 v23, v113, v23
	v_fma_f16 v113, v198, s13, -v154
	v_mul_f16_sdwa v158, v60, s0 dst_sel:DWORD dst_unused:UNUSED_PAD src0_sel:WORD_1 src1_sel:DWORD
	v_add_f16_e32 v27, v27, v28
	v_fma_f16 v28, v35, s14, v36
	v_add_f16_e32 v113, v113, v24
	v_fma_f16 v24, v57, s14, v158
	v_mul_f16_e32 v169, 0xbbf7, v60
	v_add_f16_e32 v27, v28, v27
	v_fma_f16 v28, v31, s16, v115
	v_add_f16_e32 v24, v24, v79
	v_fma_f16 v79, v198, s14, -v169
	v_mul_f16_e32 v177, 0x3a62, v60
	v_add_f16_e32 v27, v28, v27
	v_fma_f16 v28, v107, s17, v120
	v_add_f16_e32 v79, v79, v108
	v_fma_f16 v108, v198, s17, -v177
	;; [unrolled: 5-line block ×4, first 2 shown]
	v_mul_f16_e32 v196, 0x3964, v60
	v_add_f16_e32 v25, v25, v27
	v_add_f16_e32 v27, v29, v234
	;; [unrolled: 1-line block ×3, first 2 shown]
	v_fma_f16 v108, v198, s15, -v196
	v_mul_f16_sdwa v152, v67, s23 dst_sel:DWORD dst_unused:UNUSED_PAD src0_sel:WORD_1 src1_sel:DWORD
	v_pk_mul_f16 v204, v14, s40
	v_add_f16_e32 v27, v30, v27
	v_add_f16_e32 v203, v108, v112
	v_fma_f16 v108, v64, s22, v152
	s_mov_b32 s0, 0x2de839e9
	v_pk_fma_f16 v159, v40, s35, v204 op_sel:[0,0,1] op_sel_hi:[1,1,0]
	v_pk_mul_f16 v205, v42, s41
	v_add_f16_e32 v27, v34, v27
	v_add_f16_e32 v108, v108, v23
	v_pk_fma_f16 v160, v41, s0, v205
	v_add_f16_sdwa v23, v159, v0 dst_sel:DWORD dst_unused:UNUSED_PAD src0_sel:WORD_1 src1_sel:DWORD
	v_pk_mul_f16 v206, v43, s43
	v_add_f16_e32 v27, v38, v27
	v_add_f16_sdwa v23, v160, v23 dst_sel:DWORD dst_unused:UNUSED_PAD src0_sel:WORD_1 src1_sel:DWORD
	v_pk_fma_f16 v163, v44, s36, v206 op_sel:[0,0,1] op_sel_hi:[1,1,0]
	v_pk_mul_f16 v207, v45, s44
	v_add_f16_e32 v27, v119, v27
	v_add_f16_sdwa v23, v163, v23 dst_sel:DWORD dst_unused:UNUSED_PAD src0_sel:WORD_1 src1_sel:DWORD
	v_pk_fma_f16 v165, v47, s37, v207 op_sel:[0,0,1] op_sel_hi:[1,1,0]
	;; [unrolled: 4-line block ×4, first 2 shown]
	v_pk_mul_f16 v210, v57, s47
	v_pack_b32_f16 v25, v25, v26
	v_add_f16_sdwa v23, v167, v23 dst_sel:DWORD dst_unused:UNUSED_PAD src0_sel:WORD_1 src1_sel:DWORD
	v_pk_fma_f16 v168, v60, s42, v210 op_sel:[0,0,1] op_sel_hi:[1,1,0]
	v_mul_f16_sdwa v175, v67, s21 dst_sel:DWORD dst_unused:UNUSED_PAD src0_sel:WORD_1 src1_sel:DWORD
	v_pk_mul_f16 v211, v64, s49
	v_lshrrev_b32_e32 v201, 16, v64
	v_mul_f16_e32 v182, 0xb836, v67
	ds_write_b32 v106, v25 offset:64
	v_pk_fma_f16 v25, v40, s35, v204 op_sel:[0,0,1] op_sel_hi:[1,1,0] neg_lo:[1,0,0] neg_hi:[1,0,0]
	v_add_f16_sdwa v110, v168, v23 dst_sel:DWORD dst_unused:UNUSED_PAD src0_sel:WORD_1 src1_sel:DWORD
	v_fma_f16 v23, v64, s19, v175
	v_pk_fma_f16 v171, v67, s48, v211 op_sel:[0,0,1] op_sel_hi:[1,1,0]
	v_mul_f16_e32 v174, 0x35c8, v67
	v_fma_f16 v111, v201, s19, -v182
	v_mul_f16_e32 v188, 0x3964, v67
	v_pk_fma_f16 v26, v41, s0, v205 neg_lo:[0,0,1] neg_hi:[0,0,1]
	v_add_f16_sdwa v33, v25, v0 dst_sel:DWORD dst_unused:UNUSED_PAD src0_sel:DWORD src1_sel:WORD_1
	v_add_f16_e32 v23, v23, v24
	v_add_f16_sdwa v24, v171, v110 dst_sel:DWORD dst_unused:UNUSED_PAD src0_sel:WORD_1 src1_sel:DWORD
	v_fma_f16 v110, v201, s12, -v174
	v_add_f16_e32 v111, v111, v79
	v_fma_f16 v79, v201, s15, -v188
	v_mul_f16_e32 v193, 0xba62, v67
	v_pk_fma_f16 v27, v44, s36, v206 op_sel:[0,0,1] op_sel_hi:[1,1,0] neg_lo:[1,0,0] neg_hi:[1,0,0]
	v_add_f16_e32 v33, v26, v33
	v_add_f16_e32 v110, v110, v113
	;; [unrolled: 1-line block ×3, first 2 shown]
	v_fma_f16 v79, v201, s17, -v193
	v_mul_f16_e32 v199, 0x3b29, v67
	v_pk_fma_f16 v28, v47, s37, v207 op_sel:[0,0,1] op_sel_hi:[1,1,0] neg_lo:[1,0,0] neg_hi:[1,0,0]
	v_add_f16_e32 v33, v27, v33
	v_add_f16_e32 v114, v79, v114
	v_fma_f16 v79, v201, s13, -v199
	v_pk_fma_f16 v29, v50, s38, v208 op_sel:[0,0,1] op_sel_hi:[1,1,0] neg_lo:[1,0,0] neg_hi:[1,0,0]
	v_add_f16_e32 v33, v28, v33
	v_add_f16_e32 v112, v79, v202
	v_mul_f16_e32 v202, 0xbbb2, v67
	v_pk_fma_f16 v30, v55, s39, v209 op_sel:[0,0,1] op_sel_hi:[1,1,0] neg_lo:[1,0,0] neg_hi:[1,0,0]
	v_add_f16_e32 v33, v29, v33
	v_fma_f16 v79, v201, s16, -v202
	v_pk_fma_f16 v31, v60, s42, v210 op_sel:[0,0,1] op_sel_hi:[1,1,0] neg_lo:[1,0,0] neg_hi:[1,0,0]
	v_add_f16_e32 v33, v30, v33
	v_add_f16_e32 v109, v79, v203
	v_pk_fma_f16 v32, v67, s48, v211 op_sel:[0,0,1] op_sel_hi:[1,1,0] neg_lo:[1,0,0] neg_hi:[1,0,0]
	v_add_f16_e32 v33, v31, v33
	v_add_co_u32_e64 v79, s[0:1], 51, v104
	v_add_f16_e32 v115, v32, v33
	v_mul_u32_u24_e32 v33, 17, v79
	buffer_store_dword v33, off, s[52:55], 0 offset:48 ; 4-byte Folded Spill
	s_and_saveexec_b64 s[0:1], vcc
	s_cbranch_execz .LBB0_7
; %bb.6:
	v_mul_f16_e32 v35, 0x39e9, v189
	v_mul_f16_e32 v37, 0x3722, v189
	;; [unrolled: 1-line block ×7, first 2 shown]
	v_add_f16_e32 v180, v180, v189
	v_mul_f16_e32 v216, 0xb8d2, v192
	v_mul_f16_e32 v218, 0xbbdd, v192
	v_mul_f16_e32 v220, 0xb461, v192
	v_mul_f16_e32 v222, 0x39e9, v192
	v_mul_f16_e32 v224, 0x3b76, v192
	v_mul_f16_e32 v192, 0x2de8, v192
	v_add_f16_e32 v179, v179, v214
	v_add_f16_sdwa v180, v180, v0 dst_sel:DWORD dst_unused:UNUSED_PAD src0_sel:DWORD src1_sel:WORD_1
	v_mul_f16_e32 v227, 0xbbdd, v195
	v_mul_f16_e32 v229, 0xb461, v195
	;; [unrolled: 1-line block ×6, first 2 shown]
	v_add_f16_e32 v179, v179, v180
	v_add_f16_e32 v184, v184, v192
	v_mul_f16_e32 v238, 0xbacd, v197
	v_mul_f16_e32 v240, 0x39e9, v197
	;; [unrolled: 1-line block ×6, first 2 shown]
	v_add_f16_e32 v179, v184, v179
	v_add_f16_e32 v186, v186, v195
	v_mul_f16_e32 v249, 0xb461, v200
	v_mul_f16_e32 v251, 0x3b76, v200
	;; [unrolled: 1-line block ×4, first 2 shown]
	v_mov_b32_e32 v18, v46
	v_mul_f16_e32 v46, 0x39e9, v200
	v_mul_f16_e32 v200, 0xbbdd, v200
	v_add_f16_e32 v179, v186, v179
	v_add_f16_e32 v190, v190, v197
	v_mul_f16_e32 v94, 0x3722, v198
	v_mul_f16_e32 v117, 0x2de8, v198
	;; [unrolled: 1-line block ×6, first 2 shown]
	v_add_f16_e32 v179, v190, v179
	v_add_f16_e32 v194, v194, v200
	v_mul_f16_e32 v192, 0x3b76, v201
	v_mul_f16_e32 v195, 0xbacd, v201
	;; [unrolled: 1-line block ×4, first 2 shown]
	v_add_f16_e32 v179, v194, v179
	v_add_f16_e32 v196, v196, v198
	v_mul_f16_e32 v198, 0x3722, v201
	v_mul_f16_e32 v201, 0xb461, v201
	;; [unrolled: 1-line block ×3, first 2 shown]
	v_add_f16_e32 v179, v196, v179
	v_add_f16_e32 v201, v202, v201
	v_mul_f16_e32 v204, 0x39e9, v72
	v_mul_f16_e32 v206, 0xb8d2, v72
	;; [unrolled: 1-line block ×6, first 2 shown]
	v_add_f16_e32 v179, v201, v179
	v_sub_f16_e32 v201, v203, v56
	v_mul_f16_e32 v225, 0x2de8, v43
	v_add_f16_e32 v201, v201, v0
	v_sub_f16_e32 v72, v72, v62
	v_mul_f16_e32 v236, 0xb8d2, v45
	;; [unrolled: 3-line block ×3, first 2 shown]
	v_add_f16_e32 v72, v84, v72
	v_sub_f16_e32 v84, v236, v85
	v_mov_b32_e32 v83, v70
	v_mov_b32_e32 v70, v49
	v_mul_f16_e32 v49, 0xbbdd, v52
	v_add_f16_e32 v72, v84, v72
	v_sub_f16_e32 v84, v247, v86
	v_mul_f16_e32 v214, 0x39e9, v57
	v_add_f16_e32 v72, v84, v72
	v_sub_f16_e32 v49, v49, v88
	;; [unrolled: 3-line block ×3, first 2 shown]
	v_add_f16_e32 v49, v72, v49
	v_sub_f16_e32 v72, v196, v66
	v_mul_f16_e32 v213, 0xb461, v41
	v_add_f16_e32 v49, v72, v49
	v_add_f16_e32 v72, v161, v123
	v_add_f16_sdwa v72, v72, v0 dst_sel:DWORD dst_unused:UNUSED_PAD src0_sel:DWORD src1_sel:WORD_1
	v_add_f16_e32 v84, v162, v213
	v_add_f16_e32 v72, v84, v72
	;; [unrolled: 1-line block ×11, first 2 shown]
	v_mul_f16_e32 v122, 0xb8d2, v14
	v_add_f16_e32 v46, v72, v46
	v_add_f16_e32 v72, v199, v198
	;; [unrolled: 1-line block ×3, first 2 shown]
	v_sub_f16_e32 v72, v122, v51
	v_mul_f16_e32 v223, 0x3b76, v43
	v_add_f16_e32 v72, v72, v0
	v_sub_f16_e32 v84, v212, v58
	v_mul_f16_e32 v234, 0xbacd, v45
	v_add_f16_e32 v72, v84, v72
	;; [unrolled: 3-line block ×6, first 2 shown]
	v_sub_f16_e32 v65, v65, v81
	v_add_f16_e32 v65, v65, v66
	v_sub_f16_e32 v66, v194, v82
	v_mul_f16_e32 v211, 0xbacd, v41
	v_add_f16_e32 v65, v66, v65
	v_add_f16_e32 v66, v149, v121
	v_add_f16_sdwa v66, v66, v0 dst_sel:DWORD dst_unused:UNUSED_PAD src0_sel:DWORD src1_sel:WORD_1
	v_add_f16_e32 v72, v150, v211
	v_add_f16_e32 v66, v72, v66
	;; [unrolled: 1-line block ×11, first 2 shown]
	v_mul_f16_e32 v120, 0xb461, v14
	v_add_f16_e32 v62, v62, v66
	v_add_f16_e32 v66, v193, v200
	;; [unrolled: 1-line block ×3, first 2 shown]
	v_sub_f16_e32 v66, v120, v18
	v_mul_f16_e32 v221, 0x39e9, v43
	v_add_f16_e32 v66, v66, v0
	v_sub_f16_e32 v72, v210, v53
	v_mul_f16_e32 v232, 0x3722, v45
	v_add_f16_e32 v66, v72, v66
	;; [unrolled: 3-line block ×6, first 2 shown]
	v_sub_f16_e32 v61, v61, v75
	v_add_f16_e32 v61, v61, v66
	v_sub_f16_e32 v66, v190, v77
	v_mul_f16_e32 v209, 0xbbdd, v41
	v_add_f16_e32 v61, v66, v61
	v_add_f16_e32 v66, v139, v119
	v_add_f16_sdwa v66, v66, v0 dst_sel:DWORD dst_unused:UNUSED_PAD src0_sel:DWORD src1_sel:WORD_1
	v_add_f16_e32 v68, v140, v209
	v_add_f16_e32 v66, v68, v66
	;; [unrolled: 1-line block ×9, first 2 shown]
	v_mul_f16_e32 v38, 0x2de8, v14
	v_add_f16_e32 v66, v68, v66
	v_add_f16_e32 v59, v177, v95
	;; [unrolled: 1-line block ×4, first 2 shown]
	v_sub_f16_e32 v38, v38, v92
	v_mul_f16_e32 v219, 0xb461, v43
	v_add_f16_e32 v59, v66, v59
	v_add_f16_e32 v38, v38, v0
	v_sub_f16_e32 v66, v208, v70
	v_mul_f16_e32 v230, 0x3b76, v45
	v_add_f16_e32 v38, v66, v38
	v_sub_f16_e32 v66, v219, v54
	v_mul_f16_e32 v241, 0x3722, v48
	;; [unrolled: 3-line block ×3, first 2 shown]
	v_add_f16_e32 v38, v66, v38
	v_sub_f16_e32 v66, v241, v91
	v_alignbit_b32 v33, v0, v0, 16
	v_mul_f16_e32 v118, 0xb8d2, v57
	v_add_f16_e32 v38, v66, v38
	v_sub_f16_e32 v66, v252, v83
	v_alignbit_b32 v63, v63, v63, 16
	v_mul_f16_e32 v186, 0x39e9, v64
	v_add_f16_e32 v38, v66, v38
	v_sub_f16_e32 v58, v118, v74
	v_pk_add_f16 v1, v1, v33 op_sel:[0,1] op_sel_hi:[1,0]
	v_mul_f16_e32 v207, 0xb8d2, v41
	v_add_f16_e32 v38, v58, v38
	v_sub_f16_e32 v58, v186, v76
	v_add_f16_e32 v37, v133, v37
	v_pk_add_f16 v1, v63, v1
	v_add_f16_e32 v38, v58, v38
	v_add_f16_sdwa v37, v37, v0 dst_sel:DWORD dst_unused:UNUSED_PAD src0_sel:DWORD src1_sel:WORD_1
	v_add_f16_e32 v58, v134, v207
	v_pk_add_f16 v1, v15, v1
	v_add_f16_e32 v37, v58, v37
	v_add_f16_e32 v58, v138, v218
	v_pk_add_f16 v1, v12, v1
	v_add_f16_e32 v37, v58, v37
	;; [unrolled: 3-line block ×4, first 2 shown]
	v_add_f16_e32 v58, v156, v251
	v_pk_add_f16 v1, v3, v1
	v_mul_f16_e32 v36, 0x3722, v14
	v_add_f16_e32 v37, v58, v37
	v_add_f16_e32 v56, v169, v117
	v_pk_add_f16 v1, v4, v1
	v_add_f16_e32 v37, v56, v37
	v_add_f16_e32 v56, v182, v195
	v_sub_f16_e32 v36, v36, v129
	v_pk_add_f16 v1, v5, v1
	v_mul_f16_e32 v217, 0xbbdd, v43
	v_add_f16_e32 v37, v56, v37
	v_add_f16_e32 v36, v36, v0
	v_sub_f16_e32 v56, v206, v130
	v_pk_add_f16 v1, v6, v1
	v_mul_f16_e32 v228, 0xb461, v45
	v_add_f16_e32 v36, v56, v36
	v_sub_f16_e32 v56, v217, v136
	v_pk_add_f16 v1, v7, v1
	v_mul_f16_e32 v239, 0x39e9, v48
	;; [unrolled: 4-line block ×5, first 2 shown]
	v_mul_f16_e32 v184, 0xbacd, v64
	v_add_f16_e32 v36, v56, v36
	v_sub_f16_e32 v54, v116, v158
	v_mul_u32_u24_e32 v12, 17, v79
	v_pk_add_f16 v1, v11, v1
	v_mul_f16_e32 v205, 0x2de8, v41
	v_add_f16_e32 v36, v54, v36
	v_sub_f16_e32 v54, v184, v175
	v_add_f16_e32 v35, v126, v35
	v_bfi_b32 v25, s30, v159, v25
	v_sub_f16_e32 v34, v34, v124
	v_lshlrev_b32_e32 v12, 2, v12
	v_pk_add_f16 v1, v97, v1
	v_mul_f16_e32 v215, 0x3722, v43
	v_add_f16_e32 v36, v54, v36
	v_add_f16_sdwa v35, v35, v0 dst_sel:DWORD dst_unused:UNUSED_PAD src0_sel:DWORD src1_sel:WORD_1
	v_add_f16_e32 v54, v127, v205
	v_bfi_b32 v26, s30, v160, v26
	v_add_f16_e32 v0, v34, v0
	v_sub_f16_e32 v34, v204, v125
	ds_write_b32 v12, v1
	v_pk_add_f16 v1, v25, v33
	v_mul_f16_e32 v226, 0x2de8, v45
	v_add_f16_e32 v35, v54, v35
	v_add_f16_e32 v54, v132, v216
	v_bfi_b32 v27, s30, v163, v27
	v_add_f16_e32 v0, v34, v0
	v_sub_f16_e32 v34, v215, v128
	v_pk_add_f16 v1, v26, v1
	v_mul_f16_e32 v237, 0xb461, v48
	v_add_f16_e32 v35, v54, v35
	v_add_f16_e32 v54, v137, v227
	v_bfi_b32 v28, s30, v165, v28
	v_add_f16_e32 v0, v34, v0
	v_sub_f16_e32 v34, v226, v131
	;; [unrolled: 7-line block ×5, first 2 shown]
	v_pk_add_f16 v1, v30, v1
	v_add_f16_e32 v35, v53, v35
	v_add_f16_e32 v53, v174, v192
	v_bfi_b32 v32, s30, v171, v32
	v_add_f16_e32 v0, v34, v0
	v_sub_f16_e32 v34, v180, v152
	v_pk_add_f16 v1, v31, v1
	v_add_f16_e32 v35, v53, v35
	v_add_f16_e32 v0, v34, v0
	v_pk_add_f16 v1, v32, v1
	v_alignbit_b32 v2, v35, v1, 16
	v_pack_b32_f16 v0, v0, v1
	ds_write2_b32 v12, v0, v2 offset0:1 offset1:2
	v_pack_b32_f16 v0, v38, v59
	v_pack_b32_f16 v1, v36, v37
	ds_write2_b32 v12, v1, v0 offset0:3 offset1:4
	v_pack_b32_f16 v0, v65, v46
	v_pack_b32_f16 v1, v61, v62
	ds_write2_b32 v12, v1, v0 offset0:5 offset1:6
	v_pk_mul_f16 v0, v40, s23 op_sel_hi:[1,0]
	v_pk_mul_f16 v1, v42, s26 op_sel_hi:[1,0]
	v_pk_fma_f16 v8, v14, s22, v0 op_sel:[0,0,1] op_sel_hi:[1,0,0] neg_lo:[0,0,1] neg_hi:[0,0,1]
	v_pk_fma_f16 v0, v14, s22, v0 op_sel:[0,0,1] op_sel_hi:[1,0,0]
	v_bfi_b32 v9, s30, v8, v0
	v_pk_fma_f16 v10, v41, s12, v1 op_sel_hi:[1,0,1] neg_lo:[0,0,1] neg_hi:[0,0,1]
	v_pk_fma_f16 v1, v41, s12, v1 op_sel_hi:[1,0,1]
	v_pk_mul_f16 v2, v44, s21 op_sel_hi:[1,0]
	v_pk_add_f16 v9, v9, v33 op_sel:[0,1] op_sel_hi:[1,0]
	v_alignbit_b32 v11, v1, v10, 16
	v_pk_add_f16 v9, v11, v9
	v_pk_fma_f16 v11, v43, s19, v2 op_sel:[0,0,1] op_sel_hi:[1,0,0] neg_lo:[0,0,1] neg_hi:[0,0,1]
	v_pk_fma_f16 v2, v43, s19, v2 op_sel:[0,0,1] op_sel_hi:[1,0,0]
	v_pk_mul_f16 v3, v47, s25 op_sel_hi:[1,0]
	v_bfi_b32 v13, s30, v11, v2
	v_pk_add_f16 v9, v13, v9
	v_pk_fma_f16 v13, v45, s15, v3 op_sel:[0,0,1] op_sel_hi:[1,0,0] neg_lo:[0,0,1] neg_hi:[0,0,1]
	v_pk_fma_f16 v3, v45, s15, v3 op_sel:[0,0,1] op_sel_hi:[1,0,0]
	v_pk_mul_f16 v4, v50, s20 op_sel_hi:[1,0]
	v_bfi_b32 v14, s30, v13, v3
	v_pk_add_f16 v9, v14, v9
	v_pk_fma_f16 v14, v48, s17, v4 op_sel:[0,0,1] op_sel_hi:[1,0,0] neg_lo:[0,0,1] neg_hi:[0,0,1]
	v_pk_fma_f16 v4, v48, s17, v4 op_sel:[0,0,1] op_sel_hi:[1,0,0]
	v_bfi_b32 v0, s30, v0, v8
	v_pk_mul_f16 v5, v55, s24 op_sel_hi:[1,0]
	v_bfi_b32 v15, s30, v14, v4
	v_pk_add_f16 v0, v0, v33 op_sel:[0,1] op_sel_hi:[1,0]
	v_alignbit_b32 v1, v10, v1, 16
	v_pk_add_f16 v9, v15, v9
	v_pk_fma_f16 v15, v52, s13, v5 op_sel:[0,0,1] op_sel_hi:[1,0,0] neg_lo:[0,0,1] neg_hi:[0,0,1]
	v_pk_fma_f16 v5, v52, s13, v5 op_sel:[0,0,1] op_sel_hi:[1,0,0]
	v_pk_add_f16 v0, v1, v0
	v_bfi_b32 v1, s30, v2, v11
	v_pk_mul_f16 v6, v60, s18 op_sel_hi:[1,0]
	v_bfi_b32 v25, s30, v15, v5
	v_pk_add_f16 v0, v1, v0
	v_bfi_b32 v1, s30, v3, v13
	v_pk_add_f16 v9, v25, v9
	v_pk_fma_f16 v25, v57, s16, v6 op_sel:[0,0,1] op_sel_hi:[1,0,0] neg_lo:[0,0,1] neg_hi:[0,0,1]
	v_pk_fma_f16 v6, v57, s16, v6 op_sel:[0,0,1] op_sel_hi:[1,0,0]
	v_pk_add_f16 v0, v1, v0
	v_bfi_b32 v1, s30, v4, v14
	v_pk_mul_f16 v7, v67, s27 op_sel_hi:[1,0]
	v_bfi_b32 v26, s30, v25, v6
	v_pk_add_f16 v0, v1, v0
	v_bfi_b32 v1, s30, v5, v15
	v_pk_add_f16 v9, v26, v9
	v_pk_fma_f16 v26, v64, s14, v7 op_sel:[0,0,1] op_sel_hi:[1,0,0] neg_lo:[0,0,1] neg_hi:[0,0,1]
	v_pk_fma_f16 v7, v64, s14, v7 op_sel:[0,0,1] op_sel_hi:[1,0,0]
	v_pk_add_f16 v0, v1, v0
	v_bfi_b32 v1, s30, v6, v25
	v_pk_add_f16 v0, v1, v0
	v_bfi_b32 v1, s30, v7, v26
	s_mov_b32 s12, 0x5040100
	v_pk_add_f16 v0, v1, v0
	v_perm_b32 v1, v109, v21, s12
	ds_write2_b32 v12, v0, v1 offset0:9 offset1:10
	v_perm_b32 v0, v114, v19, s12
	v_perm_b32 v1, v112, v22, s12
	v_bfi_b32 v27, s30, v26, v7
	ds_write2_b32 v12, v1, v0 offset0:11 offset1:12
	v_perm_b32 v0, v111, v23, s12
	v_perm_b32 v1, v113, v20, s12
	v_pk_add_f16 v9, v27, v9
	v_pack_b32_f16 v27, v49, v179
	ds_write2_b32 v12, v1, v0 offset0:13 offset1:14
	v_perm_b32 v0, v115, v108, s12
	v_perm_b32 v1, v110, v24, s12
	ds_write2_b32 v12, v27, v9 offset0:7 offset1:8
	ds_write2_b32 v12, v1, v0 offset0:15 offset1:16
.LBB0_7:
	s_or_b64 exec, exec, s[0:1]
	s_movk_i32 s12, 0xf1
	v_mul_lo_u16_sdwa v25, v104, s12 dst_sel:DWORD dst_unused:UNUSED_PAD src0_sel:BYTE_0 src1_sel:DWORD
	v_lshrrev_b16_e32 v80, 12, v25
	v_mul_lo_u16_e32 v25, 17, v80
	v_sub_u16_e32 v82, v104, v25
	v_lshlrev_b16_e32 v25, 1, v82
	v_and_b32_e32 v25, 0xfe, v25
	v_mul_lo_u16_sdwa v27, v79, s12 dst_sel:DWORD dst_unused:UNUSED_PAD src0_sel:BYTE_0 src1_sel:DWORD
	v_lshlrev_b32_e32 v25, 2, v25
	v_lshrrev_b16_e32 v83, 12, v27
	s_waitcnt lgkmcnt(0)
	; wave barrier
	s_waitcnt lgkmcnt(0)
	s_movk_i32 s0, 0x66
	global_load_dwordx2 v[25:26], v25, s[4:5]
	v_mul_lo_u16_e32 v27, 17, v83
	v_add_co_u32_e64 v47, s[0:1], s0, v104
	v_sub_u16_e32 v27, v79, v27
	v_and_b32_e32 v84, 0xff, v27
	v_mul_lo_u16_sdwa v29, v47, s12 dst_sel:DWORD dst_unused:UNUSED_PAD src0_sel:BYTE_0 src1_sel:DWORD
	v_lshlrev_b32_e32 v27, 3, v84
	global_load_dwordx2 v[27:28], v27, s[4:5]
	v_lshrrev_b16_e32 v86, 12, v29
	s_movk_i32 s0, 0x99
	v_mul_lo_u16_e32 v29, 17, v86
	v_add_co_u32_e64 v49, s[0:1], s0, v104
	v_sub_u16_e32 v29, v47, v29
	v_and_b32_e32 v107, 0xff, v29
	v_mul_lo_u16_sdwa v31, v49, s12 dst_sel:DWORD dst_unused:UNUSED_PAD src0_sel:BYTE_0 src1_sel:DWORD
	v_lshlrev_b32_e32 v29, 3, v107
	global_load_dwordx2 v[29:30], v29, s[4:5]
	v_lshrrev_b16_e32 v119, 12, v31
	s_movk_i32 s0, 0xcc
	;; [unrolled: 9-line block ×3, first 2 shown]
	v_mul_lo_u16_e32 v33, 17, v121
	v_add_co_u32_e64 v53, s[0:1], s0, v104
	v_sub_u16_e32 v33, v51, v33
	s_mov_b32 s12, 0xf0f1
	v_and_b32_e32 v122, 0xff, v33
	v_mul_u32_u24_sdwa v35, v53, s12 dst_sel:DWORD dst_unused:UNUSED_PAD src0_sel:WORD_0 src1_sel:DWORD
	v_lshlrev_b32_e32 v33, 3, v122
	v_lshrrev_b32_e32 v123, 20, v35
	s_movk_i32 s0, 0x132
	global_load_dwordx2 v[33:34], v33, s[4:5]
	v_mul_lo_u16_e32 v35, 17, v123
	v_add_co_u32_e64 v55, s[0:1], s0, v104
	v_sub_u16_e32 v124, v53, v35
	v_lshlrev_b16_e32 v35, 1, v124
	v_mul_u32_u24_sdwa v37, v55, s12 dst_sel:DWORD dst_unused:UNUSED_PAD src0_sel:WORD_0 src1_sel:DWORD
	v_lshlrev_b32_e32 v35, 2, v35
	global_load_dwordx2 v[35:36], v35, s[4:5]
	v_lshrrev_b32_e32 v125, 20, v37
	s_movk_i32 s0, 0x165
	v_mul_lo_u16_e32 v37, 17, v125
	v_add_co_u32_e64 v57, s[0:1], s0, v104
	v_sub_u16_e32 v126, v55, v37
	v_lshlrev_b16_e32 v37, 1, v126
	v_mul_u32_u24_sdwa v39, v57, s12 dst_sel:DWORD dst_unused:UNUSED_PAD src0_sel:WORD_0 src1_sel:DWORD
	v_lshlrev_b32_e32 v37, 2, v37
	global_load_dwordx2 v[37:38], v37, s[4:5]
	v_lshrrev_b32_e32 v127, 20, v39
	s_movk_i32 s0, 0x198
	v_mul_lo_u16_e32 v39, 17, v127
	v_sub_u16_e32 v128, v57, v39
	v_add_co_u32_e64 v59, s[0:1], s0, v104
	v_lshlrev_b16_e32 v39, 1, v128
	v_mul_u32_u24_sdwa v41, v59, s12 dst_sel:DWORD dst_unused:UNUSED_PAD src0_sel:WORD_0 src1_sel:DWORD
	v_lshlrev_b32_e32 v39, 2, v39
	global_load_dwordx2 v[39:40], v39, s[4:5]
	v_lshrrev_b32_e32 v129, 20, v41
	v_mul_lo_u16_e32 v41, 17, v129
	v_sub_u16_e32 v130, v59, v41
	v_lshlrev_b16_e32 v41, 1, v130
	v_lshlrev_b32_e32 v41, 2, v41
	global_load_dwordx2 v[41:42], v41, s[4:5]
	v_add_u32_e32 v73, 0x400, v87
	ds_read2_b32 v[2:3], v73 offset0:152 offset1:203
	v_add_u32_e32 v77, 0xc00, v87
	ds_read2_b32 v[4:5], v77 offset0:150 offset1:201
	;; [unrolled: 2-line block ×3, first 2 shown]
	s_waitcnt lgkmcnt(2)
	v_lshrrev_b32_e32 v50, 16, v3
	s_waitcnt vmcnt(8)
	v_mul_f16_sdwa v141, v50, v25 dst_sel:DWORD dst_unused:UNUSED_PAD src0_sel:DWORD src1_sel:WORD_1
	s_waitcnt lgkmcnt(1)
	v_lshrrev_b32_e32 v52, 16, v4
	v_fma_f16 v141, v3, v25, -v141
	v_mul_f16_sdwa v3, v3, v25 dst_sel:DWORD dst_unused:UNUSED_PAD src0_sel:DWORD src1_sel:WORD_1
	v_fma_f16 v3, v50, v25, v3
	v_mul_f16_sdwa v50, v52, v26 dst_sel:DWORD dst_unused:UNUSED_PAD src0_sel:DWORD src1_sel:WORD_1
	s_waitcnt lgkmcnt(0)
	v_lshrrev_b32_e32 v56, 16, v6
	v_add_u32_e32 v81, 0xe00, v87
	v_fma_f16 v50, v4, v26, -v50
	v_mul_f16_sdwa v4, v4, v26 dst_sel:DWORD dst_unused:UNUSED_PAD src0_sel:DWORD src1_sel:WORD_1
	ds_read2_b32 v[10:11], v81 offset0:124 offset1:175
	v_fma_f16 v4, v52, v26, v4
	s_waitcnt vmcnt(7)
	v_mul_f16_sdwa v52, v56, v27 dst_sel:DWORD dst_unused:UNUSED_PAD src0_sel:DWORD src1_sel:WORD_1
	v_lshrrev_b32_e32 v58, 16, v5
	v_add_u32_e32 v78, 0x800, v87
	v_fma_f16 v52, v6, v27, -v52
	v_mul_f16_sdwa v6, v6, v27 dst_sel:DWORD dst_unused:UNUSED_PAD src0_sel:DWORD src1_sel:WORD_1
	ds_read2_b32 v[12:13], v78 offset0:100 offset1:151
	v_fma_f16 v6, v56, v27, v6
	v_mul_f16_sdwa v56, v58, v28 dst_sel:DWORD dst_unused:UNUSED_PAD src0_sel:DWORD src1_sel:WORD_1
	v_lshrrev_b32_e32 v67, 16, v7
	v_fma_f16 v56, v5, v28, -v56
	v_mul_f16_sdwa v5, v5, v28 dst_sel:DWORD dst_unused:UNUSED_PAD src0_sel:DWORD src1_sel:WORD_1
	v_fma_f16 v5, v58, v28, v5
	s_waitcnt vmcnt(6)
	v_mul_f16_sdwa v58, v67, v29 dst_sel:DWORD dst_unused:UNUSED_PAD src0_sel:DWORD src1_sel:WORD_1
	s_waitcnt lgkmcnt(1)
	v_lshrrev_b32_e32 v68, 16, v10
	v_fma_f16 v58, v7, v29, -v58
	v_mul_f16_sdwa v7, v7, v29 dst_sel:DWORD dst_unused:UNUSED_PAD src0_sel:DWORD src1_sel:WORD_1
	v_fma_f16 v7, v67, v29, v7
	v_mul_f16_sdwa v67, v68, v30 dst_sel:DWORD dst_unused:UNUSED_PAD src0_sel:DWORD src1_sel:WORD_1
	s_waitcnt lgkmcnt(0)
	v_lshrrev_b32_e32 v70, 16, v12
	v_add_u32_e32 v85, 0x1000, v87
	v_fma_f16 v67, v10, v30, -v67
	v_mul_f16_sdwa v10, v10, v30 dst_sel:DWORD dst_unused:UNUSED_PAD src0_sel:DWORD src1_sel:WORD_1
	ds_read2_b32 v[43:44], v85 offset0:98 offset1:149
	v_fma_f16 v10, v68, v30, v10
	s_waitcnt vmcnt(5)
	v_mul_f16_sdwa v68, v70, v31 dst_sel:DWORD dst_unused:UNUSED_PAD src0_sel:DWORD src1_sel:WORD_1
	v_lshrrev_b32_e32 v71, 16, v11
	v_fma_f16 v68, v12, v31, -v68
	v_mul_f16_sdwa v12, v12, v31 dst_sel:DWORD dst_unused:UNUSED_PAD src0_sel:DWORD src1_sel:WORD_1
	ds_read2_b32 v[45:46], v78 offset0:202 offset1:253
	v_fma_f16 v12, v70, v31, v12
	v_mul_f16_sdwa v70, v71, v32 dst_sel:DWORD dst_unused:UNUSED_PAD src0_sel:DWORD src1_sel:WORD_1
	v_lshrrev_b32_e32 v75, 16, v13
	v_fma_f16 v70, v11, v32, -v70
	v_mul_f16_sdwa v11, v11, v32 dst_sel:DWORD dst_unused:UNUSED_PAD src0_sel:DWORD src1_sel:WORD_1
	v_fma_f16 v11, v71, v32, v11
	s_waitcnt vmcnt(4)
	v_mul_f16_sdwa v71, v75, v33 dst_sel:DWORD dst_unused:UNUSED_PAD src0_sel:DWORD src1_sel:WORD_1
	s_waitcnt lgkmcnt(1)
	v_lshrrev_b32_e32 v76, 16, v43
	v_fma_f16 v71, v13, v33, -v71
	v_mul_f16_sdwa v13, v13, v33 dst_sel:DWORD dst_unused:UNUSED_PAD src0_sel:DWORD src1_sel:WORD_1
	v_fma_f16 v13, v75, v33, v13
	v_mul_f16_sdwa v75, v76, v34 dst_sel:DWORD dst_unused:UNUSED_PAD src0_sel:DWORD src1_sel:WORD_1
	s_waitcnt lgkmcnt(0)
	v_lshrrev_b32_e32 v117, 16, v45
	v_fma_f16 v75, v43, v34, -v75
	v_mul_f16_sdwa v43, v43, v34 dst_sel:DWORD dst_unused:UNUSED_PAD src0_sel:DWORD src1_sel:WORD_1
	ds_read2_b32 v[62:63], v85 offset0:200 offset1:251
	v_fma_f16 v43, v76, v34, v43
	s_waitcnt vmcnt(3)
	v_mul_f16_sdwa v76, v117, v35 dst_sel:DWORD dst_unused:UNUSED_PAD src0_sel:DWORD src1_sel:WORD_1
	v_lshrrev_b32_e32 v118, 16, v44
	v_fma_f16 v76, v45, v35, -v76
	v_mul_f16_sdwa v45, v45, v35 dst_sel:DWORD dst_unused:UNUSED_PAD src0_sel:DWORD src1_sel:WORD_1
	ds_read2_b32 v[64:65], v77 offset0:48 offset1:99
	v_fma_f16 v45, v117, v35, v45
	v_mul_f16_sdwa v117, v118, v36 dst_sel:DWORD dst_unused:UNUSED_PAD src0_sel:DWORD src1_sel:WORD_1
	v_lshrrev_b32_e32 v132, 16, v46
	v_fma_f16 v117, v44, v36, -v117
	v_mul_f16_sdwa v44, v44, v36 dst_sel:DWORD dst_unused:UNUSED_PAD src0_sel:DWORD src1_sel:WORD_1
	v_fma_f16 v44, v118, v36, v44
	s_waitcnt vmcnt(2)
	v_mul_f16_sdwa v118, v132, v37 dst_sel:DWORD dst_unused:UNUSED_PAD src0_sel:DWORD src1_sel:WORD_1
	s_waitcnt lgkmcnt(1)
	v_lshrrev_b32_e32 v133, 16, v62
	v_fma_f16 v118, v46, v37, -v118
	v_mul_f16_sdwa v46, v46, v37 dst_sel:DWORD dst_unused:UNUSED_PAD src0_sel:DWORD src1_sel:WORD_1
	v_fma_f16 v46, v132, v37, v46
	v_mul_f16_sdwa v132, v133, v38 dst_sel:DWORD dst_unused:UNUSED_PAD src0_sel:DWORD src1_sel:WORD_1
	s_waitcnt lgkmcnt(0)
	v_lshrrev_b32_e32 v136, 16, v64
	v_fma_f16 v132, v62, v38, -v132
	v_mul_f16_sdwa v62, v62, v38 dst_sel:DWORD dst_unused:UNUSED_PAD src0_sel:DWORD src1_sel:WORD_1
	ds_read_b32 v135, v87 offset:5304
	v_fma_f16 v62, v133, v38, v62
	s_waitcnt vmcnt(1)
	v_mul_f16_sdwa v133, v136, v39 dst_sel:DWORD dst_unused:UNUSED_PAD src0_sel:DWORD src1_sel:WORD_1
	v_lshrrev_b32_e32 v137, 16, v63
	v_fma_f16 v133, v64, v39, -v133
	v_mul_f16_sdwa v64, v64, v39 dst_sel:DWORD dst_unused:UNUSED_PAD src0_sel:DWORD src1_sel:WORD_1
	v_fma_f16 v64, v136, v39, v64
	v_mul_f16_sdwa v136, v137, v40 dst_sel:DWORD dst_unused:UNUSED_PAD src0_sel:DWORD src1_sel:WORD_1
	ds_read2_b32 v[0:1], v87 offset1:51
	v_lshrrev_b32_e32 v139, 16, v65
	v_fma_f16 v136, v63, v40, -v136
	v_mul_f16_sdwa v63, v63, v40 dst_sel:DWORD dst_unused:UNUSED_PAD src0_sel:DWORD src1_sel:WORD_1
	v_fma_f16 v63, v137, v40, v63
	s_waitcnt vmcnt(0)
	v_mul_f16_sdwa v137, v139, v41 dst_sel:DWORD dst_unused:UNUSED_PAD src0_sel:DWORD src1_sel:WORD_1
	s_waitcnt lgkmcnt(1)
	v_lshrrev_b32_e32 v140, 16, v135
	v_fma_f16 v137, v65, v41, -v137
	v_mul_f16_sdwa v65, v65, v41 dst_sel:DWORD dst_unused:UNUSED_PAD src0_sel:DWORD src1_sel:WORD_1
	v_fma_f16 v65, v139, v41, v65
	v_mul_f16_sdwa v139, v140, v42 dst_sel:DWORD dst_unused:UNUSED_PAD src0_sel:DWORD src1_sel:WORD_1
	v_fma_f16 v139, v135, v42, -v139
	v_mul_f16_sdwa v135, v135, v42 dst_sel:DWORD dst_unused:UNUSED_PAD src0_sel:DWORD src1_sel:WORD_1
	v_add_f16_e32 v142, v141, v50
	s_waitcnt lgkmcnt(0)
	v_lshrrev_b32_e32 v48, 16, v0
	v_fma_f16 v135, v140, v42, v135
	v_add_f16_e32 v140, v0, v141
	v_fma_f16 v0, v142, -0.5, v0
	v_sub_f16_e32 v142, v3, v4
	s_movk_i32 s12, 0x3aee
	s_mov_b32 s13, 0xbaee
	v_fma_f16 v143, v142, s12, v0
	v_fma_f16 v0, v142, s13, v0
	v_add_f16_e32 v142, v48, v3
	v_add_f16_e32 v3, v3, v4
	ds_read2_b32 v[8:9], v87 offset0:102 offset1:153
	v_add_f16_e32 v140, v140, v50
	v_add_f16_e32 v142, v142, v4
	v_fma_f16 v3, v3, -0.5, v48
	v_sub_f16_e32 v4, v141, v50
	v_add_f16_e32 v50, v52, v56
	v_lshrrev_b32_e32 v54, 16, v1
	v_fma_f16 v48, v4, s13, v3
	v_fma_f16 v3, v4, s12, v3
	v_add_f16_e32 v4, v1, v52
	v_fma_f16 v1, v50, -0.5, v1
	v_sub_f16_e32 v50, v6, v5
	v_fma_f16 v141, v50, s12, v1
	v_fma_f16 v1, v50, s13, v1
	v_add_f16_e32 v50, v54, v6
	v_add_f16_e32 v50, v50, v5
	;; [unrolled: 1-line block ×3, first 2 shown]
	v_fma_f16 v5, v5, -0.5, v54
	v_sub_f16_e32 v6, v52, v56
	v_add_f16_e32 v54, v58, v67
	s_waitcnt lgkmcnt(0)
	v_lshrrev_b32_e32 v66, 16, v8
	v_fma_f16 v52, v6, s13, v5
	v_fma_f16 v5, v6, s12, v5
	v_add_f16_e32 v6, v8, v58
	v_fma_f16 v8, v54, -0.5, v8
	v_sub_f16_e32 v54, v7, v10
	v_add_f16_e32 v4, v4, v56
	v_fma_f16 v56, v54, s12, v8
	v_fma_f16 v8, v54, s13, v8
	v_add_f16_e32 v54, v66, v7
	v_add_f16_e32 v7, v7, v10
	ds_read2_b32 v[14:15], v87 offset0:204 offset1:255
	v_add_f16_e32 v54, v54, v10
	v_fma_f16 v7, v7, -0.5, v66
	v_sub_f16_e32 v10, v58, v67
	v_add_f16_e32 v66, v68, v70
	v_lshrrev_b32_e32 v69, 16, v9
	v_fma_f16 v58, v10, s13, v7
	v_fma_f16 v7, v10, s12, v7
	v_add_f16_e32 v10, v9, v68
	v_fma_f16 v9, v66, -0.5, v9
	v_sub_f16_e32 v66, v12, v11
	v_add_f16_e32 v6, v6, v67
	v_fma_f16 v67, v66, s12, v9
	v_fma_f16 v9, v66, s13, v9
	v_add_f16_e32 v66, v69, v12
	v_add_f16_e32 v66, v66, v11
	;; [unrolled: 1-line block ×3, first 2 shown]
	v_fma_f16 v11, v11, -0.5, v69
	v_sub_f16_e32 v12, v68, v70
	v_add_f16_e32 v69, v71, v75
	s_waitcnt lgkmcnt(0)
	v_lshrrev_b32_e32 v72, 16, v14
	v_fma_f16 v68, v12, s13, v11
	v_fma_f16 v11, v12, s12, v11
	v_add_f16_e32 v12, v14, v71
	v_fma_f16 v14, v69, -0.5, v14
	v_sub_f16_e32 v69, v13, v43
	v_add_f16_e32 v10, v10, v70
	v_fma_f16 v70, v69, s12, v14
	v_fma_f16 v14, v69, s13, v14
	v_add_f16_e32 v69, v72, v13
	v_add_f16_e32 v13, v13, v43
	v_add_f16_e32 v69, v69, v43
	v_fma_f16 v13, v13, -0.5, v72
	v_sub_f16_e32 v43, v71, v75
	v_fma_f16 v71, v43, s13, v13
	v_fma_f16 v13, v43, s12, v13
	v_add_f16_e32 v43, v15, v76
	ds_read2_b32 v[60:61], v73 offset0:50 offset1:101
	v_add_f16_e32 v72, v43, v117
	v_add_f16_e32 v43, v76, v117
	v_lshrrev_b32_e32 v116, 16, v15
	v_fma_f16 v15, v43, -0.5, v15
	v_sub_f16_e32 v43, v45, v44
	v_add_f16_e32 v12, v12, v75
	v_fma_f16 v75, v43, s12, v15
	v_fma_f16 v15, v43, s13, v15
	v_add_f16_e32 v43, v116, v45
	v_add_f16_e32 v144, v43, v44
	;; [unrolled: 1-line block ×3, first 2 shown]
	v_fma_f16 v43, v43, -0.5, v116
	v_sub_f16_e32 v44, v76, v117
	v_fma_f16 v45, v44, s13, v43
	v_fma_f16 v44, v44, s12, v43
	s_waitcnt lgkmcnt(0)
	v_add_f16_e32 v43, v60, v118
	v_add_f16_e32 v76, v43, v132
	v_add_f16_e32 v43, v118, v132
	v_lshrrev_b32_e32 v131, 16, v60
	v_fma_f16 v43, v43, -0.5, v60
	v_sub_f16_e32 v60, v46, v62
	v_fma_f16 v145, v60, s12, v43
	v_fma_f16 v60, v60, s13, v43
	v_add_f16_e32 v43, v131, v46
	v_add_f16_e32 v146, v43, v62
	v_add_f16_e32 v43, v46, v62
	v_fma_f16 v43, v43, -0.5, v131
	v_sub_f16_e32 v46, v118, v132
	v_fma_f16 v62, v46, s13, v43
	v_fma_f16 v46, v46, s12, v43
	v_add_f16_e32 v43, v61, v133
	v_add_f16_e32 v131, v43, v136
	v_add_f16_e32 v43, v133, v136
	v_lshrrev_b32_e32 v134, 16, v61
	v_fma_f16 v43, v43, -0.5, v61
	v_sub_f16_e32 v61, v64, v63
	v_fma_f16 v132, v61, s12, v43
	v_fma_f16 v61, v61, s13, v43
	v_add_f16_e32 v43, v134, v64
	v_add_f16_e32 v147, v43, v63
	v_add_f16_e32 v43, v64, v63
	v_fma_f16 v43, v43, -0.5, v134
	v_sub_f16_e32 v63, v133, v136
	v_fma_f16 v64, v63, s13, v43
	v_fma_f16 v63, v63, s12, v43
	;; [unrolled: 15-line block ×3, first 2 shown]
	v_mad_legacy_u16 v80, v80, 51, v82
	v_mov_b32_e32 v43, 2
	v_lshlrev_b32_sdwa v181, v43, v80 dst_sel:DWORD dst_unused:UNUSED_PAD src0_sel:DWORD src1_sel:BYTE_0
	v_pack_b32_f16 v0, v0, v3
	s_waitcnt lgkmcnt(0)
	; wave barrier
	ds_write_b32 v181, v0 offset:136
	v_mul_u32_u24_e32 v0, 51, v83
	v_pack_b32_f16 v80, v140, v142
	v_pack_b32_f16 v48, v143, v48
	v_add_lshl_u32 v18, v0, v84, 2
	v_pack_b32_f16 v0, v4, v50
	v_pack_b32_f16 v3, v141, v52
	ds_write2_b32 v181, v80, v48 offset1:17
	ds_write2_b32 v18, v0, v3 offset1:17
	v_pack_b32_f16 v0, v1, v5
	ds_write_b32 v18, v0 offset:136
	v_mul_u32_u24_e32 v0, 51, v86
	v_add_lshl_u32 v182, v0, v107, 2
	v_pack_b32_f16 v0, v6, v54
	v_pack_b32_f16 v1, v56, v58
	ds_write2_b32 v182, v0, v1 offset1:17
	v_pack_b32_f16 v0, v8, v7
	ds_write_b32 v182, v0 offset:136
	v_mul_u32_u24_e32 v0, 51, v119
	v_add_lshl_u32 v183, v0, v120, 2
	v_pack_b32_f16 v0, v10, v66
	v_pack_b32_f16 v1, v67, v68
	;; [unrolled: 7-line block ×3, first 2 shown]
	ds_write2_b32 v184, v0, v1 offset1:17
	v_pack_b32_f16 v0, v14, v13
	ds_write_b32 v184, v0 offset:136
	v_mad_legacy_u16 v0, v123, 51, v124
	v_lshlrev_b32_e32 v185, 2, v0
	v_pack_b32_f16 v0, v72, v144
	v_pack_b32_f16 v1, v75, v45
	ds_write2_b32 v185, v0, v1 offset1:17
	v_pack_b32_f16 v0, v15, v44
	ds_write_b32 v185, v0 offset:136
	v_mad_legacy_u16 v0, v125, 51, v126
	v_lshlrev_b32_e32 v186, 2, v0
	v_pack_b32_f16 v0, v76, v146
	v_pack_b32_f16 v1, v145, v62
	;; [unrolled: 7-line block ×4, first 2 shown]
	ds_write2_b32 v188, v0, v1 offset1:17
	v_pack_b32_f16 v0, v2, v65
	v_lshlrev_b32_e32 v4, 5, v104
	ds_write_b32 v188, v0 offset:136
	s_waitcnt lgkmcnt(0)
	; wave barrier
	s_waitcnt lgkmcnt(0)
	global_load_dwordx4 v[0:3], v4, s[4:5] offset:136
	s_nop 0
	global_load_dwordx4 v[4:7], v4, s[4:5] offset:152
	s_movk_i32 s0, 0xa1
	v_mul_lo_u16_sdwa v8, v47, s0 dst_sel:DWORD dst_unused:UNUSED_PAD src0_sel:BYTE_0 src1_sel:DWORD
	v_lshrrev_b16_e32 v8, 13, v8
	v_mul_lo_u16_e32 v8, 51, v8
	v_sub_u16_e32 v135, v47, v8
	v_mov_b32_e32 v8, 5
	v_lshlrev_b32_sdwa v12, v8, v135 dst_sel:DWORD dst_unused:UNUSED_PAD src0_sel:DWORD src1_sel:BYTE_0
	ds_read2_b32 v[44:45], v87 offset1:51
	ds_read2_b32 v[60:61], v87 offset0:102 offset1:153
	ds_read2_b32 v[62:63], v73 offset0:50 offset1:101
	;; [unrolled: 1-line block ×12, first 2 shown]
	global_load_dwordx4 v[8:11], v12, s[4:5] offset:136
	s_waitcnt lgkmcnt(11)
	v_lshrrev_b32_e32 v48, 16, v61
	global_load_dwordx4 v[12:15], v12, s[4:5] offset:152
	s_waitcnt lgkmcnt(10)
	v_lshrrev_b32_e32 v50, 16, v62
	s_waitcnt lgkmcnt(9)
	v_lshrrev_b32_e32 v52, 16, v65
	;; [unrolled: 2-line block ×8, first 2 shown]
	v_lshrrev_b32_e32 v107, 16, v63
	s_waitcnt lgkmcnt(2)
	v_lshrrev_b32_e32 v133, 16, v127
	v_lshrrev_b32_e32 v134, 16, v67
	s_waitcnt lgkmcnt(1)
	v_lshrrev_b32_e32 v136, 16, v129
	;; [unrolled: 3-line block ×3, first 2 shown]
	v_lshrrev_b32_e32 v139, 16, v83
	v_lshrrev_b32_e32 v141, 16, v126
	v_lshrrev_b32_e32 v142, 16, v64
	v_lshrrev_b32_e32 v143, 16, v128
	v_lshrrev_b32_e32 v145, 16, v68
	v_lshrrev_b32_e32 v146, 16, v130
	ds_read_b32 v144, v87 offset:5304
	v_lshrrev_b32_e32 v147, 16, v75
	v_lshrrev_b32_e32 v148, 16, v132
	s_movk_i32 s17, 0x3be1
	s_movk_i32 s15, 0x3579
	s_waitcnt lgkmcnt(0)
	v_lshrrev_b32_e32 v149, 16, v144
	s_mov_b32 s16, 0xb924
	s_movk_i32 s0, 0x3a21
	v_lshrrev_b32_e32 v46, 16, v44
	s_movk_i32 s1, 0x318f
	s_mov_b32 s14, 0xbb84
	v_lshrrev_b32_e32 v84, 16, v45
	v_lshrrev_b32_e32 v140, 16, v60
	s_waitcnt lgkmcnt(0)
	; wave barrier
	v_lshlrev_b32_e32 v47, 3, v47
	v_lshlrev_b32_e32 v49, 3, v49
	;; [unrolled: 1-line block ×7, first 2 shown]
	s_waitcnt vmcnt(3)
	v_mul_f16_sdwa v150, v48, v0 dst_sel:DWORD dst_unused:UNUSED_PAD src0_sel:DWORD src1_sel:WORD_1
	v_fma_f16 v150, v61, v0, -v150
	v_mul_f16_sdwa v61, v61, v0 dst_sel:DWORD dst_unused:UNUSED_PAD src0_sel:DWORD src1_sel:WORD_1
	v_fma_f16 v48, v48, v0, v61
	v_mul_f16_sdwa v61, v50, v1 dst_sel:DWORD dst_unused:UNUSED_PAD src0_sel:DWORD src1_sel:WORD_1
	v_fma_f16 v61, v62, v1, -v61
	v_mul_f16_sdwa v62, v62, v1 dst_sel:DWORD dst_unused:UNUSED_PAD src0_sel:DWORD src1_sel:WORD_1
	v_fma_f16 v50, v50, v1, v62
	;; [unrolled: 4-line block ×4, first 2 shown]
	s_waitcnt vmcnt(2)
	v_mul_f16_sdwa v66, v56, v4 dst_sel:DWORD dst_unused:UNUSED_PAD src0_sel:DWORD src1_sel:WORD_1
	v_fma_f16 v66, v69, v4, -v66
	v_mul_f16_sdwa v69, v69, v4 dst_sel:DWORD dst_unused:UNUSED_PAD src0_sel:DWORD src1_sel:WORD_1
	v_fma_f16 v56, v56, v4, v69
	v_mul_f16_sdwa v69, v58, v5 dst_sel:DWORD dst_unused:UNUSED_PAD src0_sel:DWORD src1_sel:WORD_1
	v_fma_f16 v69, v70, v5, -v69
	v_mul_f16_sdwa v70, v70, v5 dst_sel:DWORD dst_unused:UNUSED_PAD src0_sel:DWORD src1_sel:WORD_1
	v_fma_f16 v58, v58, v5, v70
	;; [unrolled: 4-line block ×12, first 2 shown]
	s_waitcnt vmcnt(1)
	v_mul_f16_sdwa v139, v141, v8 dst_sel:DWORD dst_unused:UNUSED_PAD src0_sel:DWORD src1_sel:WORD_1
	v_fma_f16 v139, v126, v8, -v139
	v_mul_f16_sdwa v126, v126, v8 dst_sel:DWORD dst_unused:UNUSED_PAD src0_sel:DWORD src1_sel:WORD_1
	v_fma_f16 v126, v141, v8, v126
	v_mul_f16_sdwa v141, v142, v9 dst_sel:DWORD dst_unused:UNUSED_PAD src0_sel:DWORD src1_sel:WORD_1
	v_fma_f16 v141, v64, v9, -v141
	v_mul_f16_sdwa v64, v64, v9 dst_sel:DWORD dst_unused:UNUSED_PAD src0_sel:DWORD src1_sel:WORD_1
	v_fma_f16 v64, v142, v9, v64
	;; [unrolled: 4-line block ×4, first 2 shown]
	s_waitcnt vmcnt(0)
	v_mul_f16_sdwa v145, v146, v12 dst_sel:DWORD dst_unused:UNUSED_PAD src0_sel:DWORD src1_sel:WORD_1
	v_fma_f16 v145, v130, v12, -v145
	v_mul_f16_sdwa v130, v130, v12 dst_sel:DWORD dst_unused:UNUSED_PAD src0_sel:DWORD src1_sel:WORD_1
	v_fma_f16 v130, v146, v12, v130
	v_mul_f16_sdwa v146, v147, v13 dst_sel:DWORD dst_unused:UNUSED_PAD src0_sel:DWORD src1_sel:WORD_1
	v_fma_f16 v146, v75, v13, -v146
	v_mul_f16_sdwa v75, v75, v13 dst_sel:DWORD dst_unused:UNUSED_PAD src0_sel:DWORD src1_sel:WORD_1
	v_fma_f16 v75, v147, v13, v75
	;; [unrolled: 4-line block ×3, first 2 shown]
	v_mul_f16_sdwa v148, v149, v15 dst_sel:DWORD dst_unused:UNUSED_PAD src0_sel:DWORD src1_sel:WORD_1
	v_fma_f16 v148, v144, v15, -v148
	v_mul_f16_sdwa v144, v144, v15 dst_sel:DWORD dst_unused:UNUSED_PAD src0_sel:DWORD src1_sel:WORD_1
	v_add_f16_e32 v151, v48, v80
	v_sub_f16_e32 v48, v48, v80
	v_fma_f16 v144, v149, v15, v144
	v_add_f16_e32 v149, v150, v76
	v_add_f16_e32 v153, v50, v72
	;; [unrolled: 1-line block ×3, first 2 shown]
	v_sub_f16_e32 v76, v150, v76
	v_sub_f16_e32 v50, v50, v72
	;; [unrolled: 1-line block ×3, first 2 shown]
	v_mul_f16_e32 v69, 0x3924, v48
	v_sub_f16_e32 v72, v54, v56
	v_add_f16_e32 v152, v61, v70
	v_add_f16_e32 v155, v52, v58
	v_sub_f16_e32 v61, v61, v70
	v_sub_f16_e32 v52, v52, v58
	v_mul_f16_e32 v58, 0x3924, v76
	v_fma_f16 v69, v50, s17, v69
	v_sub_f16_e32 v70, v65, v66
	v_mul_f16_e32 v159, 0xb924, v72
	v_fma_f16 v58, v61, s17, v58
	v_fma_f16 v69, v52, s12, v69
	v_mul_f16_e32 v158, 0xb924, v70
	v_fma_f16 v159, v48, s17, v159
	v_fma_f16 v58, v62, s12, v58
	;; [unrolled: 1-line block ×5, first 2 shown]
	v_add_f16_e32 v163, v72, v48
	v_mul_f16_e32 v72, 0x3be1, v72
	v_fma_f16 v58, v70, s15, v58
	v_fma_f16 v158, v62, s13, v158
	;; [unrolled: 1-line block ×3, first 2 shown]
	v_add_f16_e32 v162, v70, v76
	v_sub_f16_e32 v163, v163, v50
	v_mul_f16_e32 v70, 0x3be1, v70
	v_fma_f16 v50, v50, s16, -v72
	v_fma_f16 v158, v61, s15, v158
	v_sub_f16_e32 v162, v162, v61
	v_add_f16_e32 v168, v152, v149
	v_fma_f16 v61, v61, s16, -v70
	v_fma_f16 v50, v52, s12, v50
	v_add_f16_e32 v169, v153, v151
	v_fma_f16 v61, v62, s12, v61
	v_fma_f16 v48, v48, s15, v50
	v_add_f16_e32 v50, v154, v168
	v_fma_f16 v52, v76, s15, v61
	v_add_f16_e32 v61, v155, v169
	v_add_f16_e32 v50, v65, v50
	;; [unrolled: 1-line block ×6, first 2 shown]
	v_fma_f16 v80, v149, s0, v44
	v_fma_f16 v160, v156, s0, v44
	v_add_f16_e32 v166, v154, v44
	v_add_f16_e32 v54, v56, v54
	;; [unrolled: 1-line block ×3, first 2 shown]
	v_fma_f16 v44, v152, s0, v44
	v_fma_f16 v150, v151, s0, v46
	;; [unrolled: 1-line block ×3, first 2 shown]
	v_add_f16_e32 v167, v155, v46
	v_add_f16_e32 v54, v54, v46
	v_fma_f16 v46, v153, s0, v46
	v_fma_f16 v44, v156, s1, v44
	v_sub_f16_e32 v72, v82, v138
	v_fma_f16 v46, v157, s1, v46
	v_fma_f16 v44, v154, -0.5, v44
	v_add_f16_e32 v56, v82, v138
	v_add_f16_e32 v61, v86, v83
	v_add_f16_e32 v62, v125, v137
	v_sub_f16_e32 v76, v86, v83
	v_sub_f16_e32 v82, v125, v137
	v_mul_f16_e32 v86, 0x3924, v72
	v_sub_f16_e32 v125, v133, v134
	v_fma_f16 v160, v149, s1, v160
	v_fma_f16 v46, v155, -0.5, v46
	v_fma_f16 v44, v149, s14, v44
	v_add_f16_e32 v65, v63, v131
	v_add_f16_e32 v66, v107, v136
	;; [unrolled: 1-line block ×3, first 2 shown]
	v_sub_f16_e32 v63, v63, v131
	v_sub_f16_e32 v83, v107, v136
	;; [unrolled: 1-line block ×3, first 2 shown]
	v_mul_f16_e32 v107, 0x3924, v76
	v_fma_f16 v86, v82, s17, v86
	v_sub_f16_e32 v127, v67, v129
	v_mul_f16_e32 v149, 0xb924, v125
	v_fma_f16 v80, v152, s1, v80
	v_fma_f16 v161, v151, s1, v161
	;; [unrolled: 1-line block ×5, first 2 shown]
	v_mul_f16_e32 v151, 0xb924, v127
	v_fma_f16 v149, v72, s17, v149
	v_fma_f16 v150, v153, s1, v150
	v_fma_f16 v80, v154, -0.5, v80
	v_fma_f16 v160, v154, -0.5, v160
	v_fma_f16 v107, v71, s12, v107
	v_fma_f16 v86, v125, s15, v86
	;; [unrolled: 1-line block ×4, first 2 shown]
	v_add_f16_e32 v154, v125, v72
	v_mul_f16_e32 v125, 0x3be1, v125
	v_fma_f16 v150, v155, -0.5, v150
	v_fma_f16 v161, v155, -0.5, v161
	v_fma_f16 v107, v127, s15, v107
	v_fma_f16 v151, v71, s13, v151
	v_fma_f16 v149, v82, s15, v149
	v_add_f16_e32 v155, v127, v76
	v_sub_f16_e32 v154, v154, v82
	v_mul_f16_e32 v127, 0x3be1, v127
	v_fma_f16 v82, v82, s16, -v125
	v_add_f16_e32 v170, v156, v168
	v_fma_f16 v151, v63, s15, v151
	v_sub_f16_e32 v155, v155, v63
	v_add_f16_e32 v168, v62, v56
	v_fma_f16 v63, v63, s16, -v127
	v_fma_f16 v82, v83, s12, v82
	v_fma_f16 v63, v71, s12, v63
	;; [unrolled: 1-line block ×3, first 2 shown]
	v_add_f16_e32 v72, v66, v168
	v_add_f16_e32 v137, v133, v134
	;; [unrolled: 1-line block ×3, first 2 shown]
	v_fma_f16 v160, v152, s14, v160
	v_add_f16_e32 v171, v157, v169
	v_fma_f16 v166, v170, -0.5, v166
	v_add_f16_e32 v138, v67, v129
	v_fma_f16 v152, v137, s0, v45
	v_add_f16_e32 v169, v65, v61
	v_add_f16_e32 v72, v134, v72
	v_fma_f16 v161, v153, s14, v161
	v_mul_f16_e32 v165, 0x3aee, v163
	v_fma_f16 v163, v163, s12, v166
	v_fma_f16 v131, v56, s0, v45
	v_fma_f16 v153, v138, s0, v84
	v_fma_f16 v152, v56, s1, v152
	v_add_f16_e32 v166, v66, v45
	v_fma_f16 v63, v76, s15, v63
	v_add_f16_e32 v76, v70, v169
	v_add_f16_e32 v72, v72, v45
	v_fma_f16 v45, v62, s0, v45
	v_fma_f16 v136, v61, s0, v84
	;; [unrolled: 1-line block ×3, first 2 shown]
	v_fma_f16 v152, v66, -0.5, v152
	v_add_f16_e32 v67, v67, v76
	v_fma_f16 v45, v137, s1, v45
	v_fma_f16 v167, v171, -0.5, v167
	v_fma_f16 v131, v62, s1, v131
	v_fma_f16 v136, v65, s1, v136
	v_fma_f16 v153, v70, -0.5, v153
	v_fma_f16 v152, v62, s14, v152
	v_add_f16_e32 v67, v129, v67
	v_fma_f16 v62, v65, s0, v84
	v_fma_f16 v45, v66, -0.5, v45
	v_sub_f16_e32 v82, v139, v148
	v_mul_f16_e32 v164, 0x3aee, v162
	v_fma_f16 v162, v162, s13, v167
	v_fma_f16 v136, v70, -0.5, v136
	v_fma_f16 v153, v65, s14, v153
	v_add_f16_e32 v167, v70, v84
	v_add_f16_e32 v67, v67, v84
	v_fma_f16 v62, v138, s1, v62
	v_fma_f16 v45, v56, s14, v45
	v_add_f16_e32 v65, v126, v144
	v_add_f16_e32 v76, v128, v75
	v_sub_f16_e32 v83, v126, v144
	v_sub_f16_e32 v84, v141, v147
	;; [unrolled: 1-line block ×3, first 2 shown]
	v_mul_f16_e32 v126, 0x3924, v82
	v_sub_f16_e32 v128, v143, v145
	v_fma_f16 v136, v138, s14, v136
	v_add_f16_e32 v171, v138, v169
	v_fma_f16 v62, v70, -0.5, v62
	v_add_f16_e32 v45, v63, v45
	v_add_f16_e32 v70, v64, v132
	v_sub_f16_e32 v64, v64, v132
	v_sub_f16_e32 v125, v142, v146
	v_mul_f16_e32 v127, 0x3924, v83
	v_fma_f16 v126, v84, s17, v126
	v_sub_f16_e32 v129, v68, v130
	v_mul_f16_e32 v138, 0xb924, v128
	v_fma_f16 v56, v61, s14, v62
	v_fma_f16 v61, v63, -2.0, v45
	v_add_f16_e32 v63, v139, v148
	v_fma_f16 v127, v64, s17, v127
	v_fma_f16 v126, v125, s12, v126
	v_mul_f16_e32 v139, 0xb924, v129
	v_fma_f16 v138, v82, s17, v138
	v_sub_f16_e32 v56, v56, v71
	v_fma_f16 v127, v75, s12, v127
	v_fma_f16 v126, v128, s15, v126
	;; [unrolled: 1-line block ×4, first 2 shown]
	v_add_f16_e32 v144, v128, v82
	v_mul_f16_e32 v128, 0x3be1, v128
	v_add_f16_e32 v44, v48, v44
	v_sub_f16_e32 v46, v46, v52
	v_fma_f16 v131, v66, -0.5, v131
	v_fma_f16 v62, v71, 2.0, v56
	v_add_f16_e32 v66, v141, v147
	v_add_f16_e32 v71, v142, v146
	v_fma_f16 v127, v129, s15, v127
	v_fma_f16 v139, v75, s13, v139
	;; [unrolled: 1-line block ×3, first 2 shown]
	v_add_f16_e32 v146, v129, v83
	v_sub_f16_e32 v144, v144, v84
	v_mul_f16_e32 v129, 0x3be1, v129
	v_fma_f16 v84, v84, s16, -v128
	v_fma_f16 v80, v156, s14, v80
	v_fma_f16 v150, v157, s14, v150
	v_add_f16_e32 v160, v159, v160
	v_sub_f16_e32 v161, v161, v158
	v_fma_f16 v48, v48, -2.0, v44
	v_fma_f16 v52, v52, 2.0, v46
	v_add_f16_e32 v170, v137, v168
	v_add_f16_e32 v134, v143, v145
	v_fma_f16 v139, v64, s15, v139
	v_sub_f16_e32 v146, v146, v64
	v_add_f16_e32 v168, v66, v63
	v_fma_f16 v64, v64, s16, -v129
	v_fma_f16 v84, v125, s12, v84
	v_add_f16_e32 v80, v69, v80
	v_sub_f16_e32 v150, v150, v58
	v_fma_f16 v159, v159, -2.0, v160
	v_fma_f16 v158, v158, 2.0, v161
	v_fma_f16 v165, v165, -2.0, v163
	v_fma_f16 v164, v164, 2.0, v162
	v_fma_f16 v141, v134, s0, v60
	v_fma_f16 v64, v75, s12, v64
	;; [unrolled: 1-line block ×3, first 2 shown]
	v_add_f16_e32 v82, v71, v168
	v_pack_b32_f16 v44, v44, v46
	v_pack_b32_f16 v46, v48, v52
	v_fma_f16 v69, v69, -2.0, v80
	v_fma_f16 v58, v58, 2.0, v150
	v_fma_f16 v131, v137, s14, v131
	v_fma_f16 v141, v63, s1, v141
	v_add_f16_e32 v82, v143, v82
	ds_write2_b32 v87, v44, v46 offset0:204 offset1:255
	v_pack_b32_f16 v44, v165, v164
	v_pack_b32_f16 v46, v159, v158
	v_add_f16_e32 v131, v107, v131
	v_sub_f16_e32 v136, v136, v86
	v_add_f16_e32 v152, v151, v152
	v_sub_f16_e32 v153, v153, v149
	v_fma_f16 v166, v170, -0.5, v166
	v_fma_f16 v167, v171, -0.5, v167
	v_fma_f16 v132, v63, s0, v60
	v_fma_f16 v133, v65, s0, v140
	v_add_f16_e32 v137, v68, v130
	v_fma_f16 v141, v71, -0.5, v141
	v_add_f16_e32 v169, v70, v65
	v_add_f16_e32 v82, v145, v82
	ds_write2_b32 v73, v44, v46 offset0:50 offset1:101
	v_pack_b32_f16 v44, v69, v58
	v_pack_b32_f16 v46, v72, v67
	v_mul_f16_e32 v156, 0x3aee, v154
	v_mul_f16_e32 v157, 0x3aee, v155
	v_fma_f16 v155, v155, s12, v166
	v_fma_f16 v154, v154, s13, v167
	;; [unrolled: 1-line block ×6, first 2 shown]
	v_add_f16_e32 v166, v71, v60
	v_fma_f16 v64, v83, s15, v64
	v_add_f16_e32 v83, v76, v169
	v_add_f16_e32 v82, v82, v60
	v_fma_f16 v60, v66, s0, v60
	v_fma_f16 v66, v70, s0, v140
	ds_write2_b32 v73, v44, v46 offset0:152 offset1:203
	v_pack_b32_f16 v44, v131, v136
	v_pack_b32_f16 v46, v152, v153
	v_fma_f16 v157, v157, -2.0, v155
	v_fma_f16 v156, v156, 2.0, v154
	v_fma_f16 v132, v71, -0.5, v132
	v_fma_f16 v133, v76, -0.5, v133
	v_fma_f16 v142, v65, s1, v142
	v_add_f16_e32 v68, v68, v83
	v_fma_f16 v60, v134, s1, v60
	v_fma_f16 v66, v137, s1, v66
	ds_write2_b32 v74, v44, v46 offset0:126 offset1:177
	v_pack_b32_f16 v44, v155, v154
	v_pack_b32_f16 v45, v45, v56
	v_fma_f16 v107, v107, -2.0, v131
	v_fma_f16 v86, v86, 2.0, v136
	v_fma_f16 v151, v151, -2.0, v152
	v_fma_f16 v149, v149, 2.0, v153
	v_fma_f16 v132, v134, s14, v132
	v_fma_f16 v133, v137, s14, v133
	v_fma_f16 v142, v76, -0.5, v142
	v_add_f16_e32 v167, v76, v140
	v_add_f16_e32 v170, v134, v168
	;; [unrolled: 1-line block ×4, first 2 shown]
	v_fma_f16 v60, v71, -0.5, v60
	v_fma_f16 v66, v76, -0.5, v66
	ds_write2_b32 v78, v44, v45 offset0:100 offset1:151
	v_pack_b32_f16 v44, v61, v62
	v_pack_b32_f16 v45, v157, v156
	v_add_f16_e32 v132, v127, v132
	v_sub_f16_e32 v133, v133, v126
	v_fma_f16 v142, v70, s14, v142
	v_fma_f16 v166, v170, -0.5, v166
	v_fma_f16 v167, v171, -0.5, v167
	v_add_f16_e32 v68, v68, v140
	v_fma_f16 v60, v63, s14, v60
	v_fma_f16 v63, v65, s14, v66
	v_pack_b32_f16 v50, v50, v54
	v_pack_b32_f16 v54, v80, v150
	ds_write2_b32 v78, v44, v45 offset0:202 offset1:253
	v_pack_b32_f16 v44, v151, v149
	v_pack_b32_f16 v45, v107, v86
	v_lshlrev_b32_sdwa v125, v43, v135 dst_sel:DWORD dst_unused:UNUSED_PAD src0_sel:DWORD src1_sel:BYTE_0
	v_add_f16_e32 v141, v139, v141
	v_sub_f16_e32 v142, v142, v138
	v_mul_f16_e32 v147, 0x3aee, v144
	v_mul_f16_e32 v148, 0x3aee, v146
	v_fma_f16 v146, v146, s12, v166
	v_fma_f16 v144, v144, s13, v167
	v_add_f16_e32 v60, v64, v60
	v_sub_f16_e32 v63, v63, v75
	ds_write2_b32 v87, v50, v54 offset1:51
	v_pack_b32_f16 v50, v160, v161
	v_pack_b32_f16 v54, v163, v162
	ds_write2_b32 v77, v44, v45 offset0:48 offset1:99
	v_pack_b32_f16 v43, v82, v68
	v_pack_b32_f16 v44, v132, v133
	v_add_u32_e32 v45, 0xc00, v125
	v_fma_f16 v64, v64, -2.0, v60
	v_fma_f16 v65, v75, 2.0, v63
	ds_write2_b32 v87, v50, v54 offset0:102 offset1:153
	ds_write2_b32 v45, v43, v44 offset0:150 offset1:201
	v_pack_b32_f16 v43, v141, v142
	v_pack_b32_f16 v44, v146, v144
	v_add_u32_e32 v45, 0xe00, v125
	v_fma_f16 v139, v139, -2.0, v141
	v_fma_f16 v138, v138, 2.0, v142
	v_fma_f16 v148, v148, -2.0, v146
	v_fma_f16 v147, v147, 2.0, v144
	ds_write2_b32 v45, v43, v44 offset0:124 offset1:175
	v_pack_b32_f16 v43, v60, v63
	v_pack_b32_f16 v44, v64, v65
	v_add_u32_e32 v45, 0x1000, v125
	v_fma_f16 v127, v127, -2.0, v132
	v_fma_f16 v126, v126, 2.0, v133
	ds_write2_b32 v45, v43, v44 offset0:98 offset1:149
	v_pack_b32_f16 v43, v148, v147
	v_pack_b32_f16 v44, v139, v138
	ds_write2_b32 v45, v43, v44 offset0:200 offset1:251
	v_pack_b32_f16 v43, v127, v126
	ds_write_b32 v125, v43 offset:5304
	v_lshlrev_b32_e32 v43, 3, v104
	s_waitcnt lgkmcnt(0)
	; wave barrier
	s_waitcnt lgkmcnt(0)
	global_load_dwordx2 v[43:44], v43, s[4:5] offset:1768
	v_lshlrev_b32_e32 v45, 3, v79
	global_load_dwordx2 v[45:46], v45, s[4:5] offset:1768
	v_lshlrev_b32_e32 v52, 2, v104
	global_load_dwordx2 v[47:48], v47, s[4:5] offset:1768
	v_add_co_u32_e64 v84, s[0:1], s2, v52
	global_load_dwordx2 v[49:50], v49, s[4:5] offset:1768
	ds_read2_b32 v[61:62], v87 offset1:51
	ds_read2_b32 v[69:70], v73 offset0:152 offset1:203
	ds_read2_b32 v[63:64], v77 offset0:150 offset1:201
	global_load_dwordx2 v[51:52], v51, s[4:5] offset:1768
	v_mov_b32_e32 v54, s3
	v_addc_co_u32_e64 v86, s[0:1], 0, v54, s[0:1]
	ds_read2_b32 v[65:66], v74 offset0:126 offset1:177
	ds_read2_b32 v[67:68], v87 offset0:102 offset1:153
	global_load_dwordx2 v[53:54], v53, s[4:5] offset:1768
	ds_read2_b32 v[71:72], v81 offset0:124 offset1:175
	ds_read2_b32 v[75:76], v78 offset0:100 offset1:151
	global_load_dwordx2 v[55:56], v55, s[4:5] offset:1768
	;; [unrolled: 3-line block ×4, first 2 shown]
	s_waitcnt lgkmcnt(9)
	v_lshrrev_b32_e32 v128, 16, v70
	s_waitcnt lgkmcnt(8)
	v_lshrrev_b32_e32 v135, 16, v63
	;; [unrolled: 2-line block ×3, first 2 shown]
	v_lshrrev_b32_e32 v138, 16, v64
	v_lshrrev_b32_e32 v140, 16, v66
	s_waitcnt lgkmcnt(5)
	v_lshrrev_b32_e32 v141, 16, v71
	s_waitcnt lgkmcnt(4)
	v_lshrrev_b32_e32 v143, 16, v75
	v_lshrrev_b32_e32 v144, 16, v72
	;; [unrolled: 1-line block ×3, first 2 shown]
	s_waitcnt lgkmcnt(2)
	v_lshrrev_b32_e32 v147, 16, v82
	s_waitcnt lgkmcnt(1)
	v_lshrrev_b32_e32 v149, 16, v126
	ds_read2_b32 v[131:132], v85 offset0:200 offset1:251
	v_lshrrev_b32_e32 v150, 16, v83
	ds_read2_b32 v[133:134], v77 offset0:48 offset1:99
	v_lshrrev_b32_e32 v152, 16, v127
	ds_read_b32 v155, v87 offset:5304
	s_waitcnt lgkmcnt(2)
	v_lshrrev_b32_e32 v153, 16, v131
	v_lshrrev_b32_e32 v157, 16, v132
	s_waitcnt lgkmcnt(1)
	v_lshrrev_b32_e32 v156, 16, v133
	v_lshrrev_b32_e32 v159, 16, v134
	;; [unrolled: 3-line block ×3, first 2 shown]
	v_lshrrev_b32_e32 v136, 16, v62
	v_lshrrev_b32_e32 v139, 16, v67
	;; [unrolled: 1-line block ×8, first 2 shown]
	s_movk_i32 s14, 0x1000
	s_waitcnt vmcnt(8)
	v_mul_f16_sdwa v161, v128, v43 dst_sel:DWORD dst_unused:UNUSED_PAD src0_sel:DWORD src1_sel:WORD_1
	v_fma_f16 v161, v70, v43, -v161
	v_mul_f16_sdwa v70, v70, v43 dst_sel:DWORD dst_unused:UNUSED_PAD src0_sel:DWORD src1_sel:WORD_1
	v_fma_f16 v70, v128, v43, v70
	v_mul_f16_sdwa v128, v135, v44 dst_sel:DWORD dst_unused:UNUSED_PAD src0_sel:DWORD src1_sel:WORD_1
	v_fma_f16 v128, v63, v44, -v128
	v_mul_f16_sdwa v63, v63, v44 dst_sel:DWORD dst_unused:UNUSED_PAD src0_sel:DWORD src1_sel:WORD_1
	v_fma_f16 v63, v135, v44, v63
	s_waitcnt vmcnt(7)
	v_mul_f16_sdwa v135, v137, v45 dst_sel:DWORD dst_unused:UNUSED_PAD src0_sel:DWORD src1_sel:WORD_1
	v_fma_f16 v135, v65, v45, -v135
	v_mul_f16_sdwa v65, v65, v45 dst_sel:DWORD dst_unused:UNUSED_PAD src0_sel:DWORD src1_sel:WORD_1
	v_fma_f16 v65, v137, v45, v65
	v_mul_f16_sdwa v137, v138, v46 dst_sel:DWORD dst_unused:UNUSED_PAD src0_sel:DWORD src1_sel:WORD_1
	v_fma_f16 v137, v64, v46, -v137
	v_mul_f16_sdwa v64, v64, v46 dst_sel:DWORD dst_unused:UNUSED_PAD src0_sel:DWORD src1_sel:WORD_1
	v_fma_f16 v64, v138, v46, v64
	;; [unrolled: 9-line block ×9, first 2 shown]
	v_add_f16_e32 v127, v61, v161
	v_add_f16_e32 v160, v127, v128
	v_add_f16_e32 v127, v161, v128
	v_fma_f16 v61, v127, -0.5, v61
	v_sub_f16_e32 v127, v70, v63
	v_fma_f16 v163, v127, s12, v61
	v_fma_f16 v164, v127, s13, v61
	v_add_f16_e32 v61, v107, v70
	v_add_f16_e32 v165, v61, v63
	v_add_f16_e32 v61, v70, v63
	v_fma_f16 v61, v61, -0.5, v107
	v_sub_f16_e32 v63, v161, v128
	v_fma_f16 v107, v63, s13, v61
	v_fma_f16 v161, v63, s12, v61
	;; [unrolled: 7-line block ×12, first 2 shown]
	v_add_f16_e32 v63, v150, v162
	v_fma_f16 v64, v63, -0.5, v129
	v_sub_f16_e32 v65, v152, v131
	v_fma_f16 v63, v65, s12, v64
	v_fma_f16 v64, v65, s13, v64
	v_add_f16_e32 v65, v151, v152
	v_add_f16_e32 v127, v65, v131
	;; [unrolled: 1-line block ×3, first 2 shown]
	v_fma_f16 v65, v65, -0.5, v151
	v_sub_f16_e32 v66, v150, v162
	v_add_f16_e32 v62, v129, v150
	v_fma_f16 v128, v66, s13, v65
	v_fma_f16 v129, v66, s12, v65
	v_add_f16_e32 v66, v153, v156
	v_fma_f16 v67, v66, -0.5, v130
	v_sub_f16_e32 v68, v133, v132
	v_pack_b32_f16 v136, v167, v136
	v_pack_b32_f16 v71, v171, v71
	v_fma_f16 v66, v68, s12, v67
	v_fma_f16 v67, v68, s13, v67
	v_add_f16_e32 v68, v154, v133
	ds_write2_b32 v74, v136, v71 offset0:126 offset1:177
	v_pack_b32_f16 v71, v172, v138
	v_pack_b32_f16 v75, v174, v75
	v_add_f16_e32 v65, v130, v153
	v_add_f16_e32 v130, v68, v132
	;; [unrolled: 1-line block ×3, first 2 shown]
	v_pack_b32_f16 v72, v140, v72
	ds_write2_b32 v81, v71, v75 offset0:124 offset1:175
	v_pack_b32_f16 v75, v79, v76
	v_fma_f16 v68, v68, -0.5, v154
	v_sub_f16_e32 v70, v153, v156
	v_pack_b32_f16 v71, v141, v143
	ds_write2_b32 v78, v72, v75 offset0:100 offset1:151
	v_pack_b32_f16 v75, v144, v145
	v_fma_f16 v131, v70, s13, v68
	v_fma_f16 v132, v70, s12, v68
	v_add_f16_e32 v70, v157, v159
	v_pack_b32_f16 v72, v142, v82
	ds_write2_b32 v87, v71, v75 offset0:204 offset1:255
	v_pack_b32_f16 v75, v61, v126
	v_add_f16_e32 v62, v62, v162
	v_add_f16_e32 v65, v65, v156
	v_fma_f16 v70, v70, -0.5, v69
	v_sub_f16_e32 v133, v134, v155
	v_pack_b32_f16 v71, v80, v83
	ds_write2_b32 v85, v72, v75 offset0:98 offset1:149
	v_pack_b32_f16 v75, v63, v128
	v_add_f16_e32 v68, v69, v157
	v_fma_f16 v69, v133, s12, v70
	v_fma_f16 v70, v133, s13, v70
	v_add_f16_e32 v133, v158, v134
	v_add_f16_e32 v134, v134, v155
	v_pack_b32_f16 v72, v62, v127
	ds_write2_b32 v78, v71, v75 offset0:202 offset1:253
	v_pack_b32_f16 v75, v65, v130
	v_add_f16_e32 v68, v68, v159
	v_add_f16_e32 v133, v133, v155
	v_fma_f16 v135, v134, -0.5, v158
	v_sub_f16_e32 v146, v157, v159
	v_pack_b32_f16 v71, v64, v129
	ds_write2_b32 v73, v72, v75 offset0:50 offset1:101
	v_pack_b32_f16 v75, v67, v132
	v_fma_f16 v134, v146, s13, v135
	v_pack_b32_f16 v107, v163, v107
	ds_write2_b32 v85, v71, v75 offset0:200 offset1:251
	v_pack_b32_f16 v71, v68, v133
	v_fma_f16 v135, v146, s12, v135
	v_pack_b32_f16 v72, v66, v131
	ds_write2_b32 v73, v71, v107 offset0:152 offset1:203
	v_pack_b32_f16 v71, v69, v134
	ds_write2_b32 v77, v72, v71 offset0:48 offset1:99
	v_pack_b32_f16 v71, v70, v135
	v_pack_b32_f16 v147, v164, v161
	;; [unrolled: 1-line block ×3, first 2 shown]
	ds_write_b32 v87, v71 offset:5304
	v_add_co_u32_e64 v71, s[0:1], s14, v84
	v_pack_b32_f16 v146, v160, v165
	v_pack_b32_f16 v148, v166, v169
	ds_write2_b32 v77, v147, v137 offset0:150 offset1:201
	v_pack_b32_f16 v137, v170, v173
	v_pack_b32_f16 v136, v139, v175
	v_addc_co_u32_e64 v72, s[0:1], 0, v86, s[0:1]
	ds_write2_b32 v87, v146, v148 offset1:51
	ds_write2_b32 v87, v137, v136 offset0:102 offset1:153
	s_waitcnt lgkmcnt(0)
	; wave barrier
	s_waitcnt lgkmcnt(0)
	global_load_dword v82, v[71:72], off offset:1412
	s_movk_i32 s0, 0x1584
	v_add_co_u32_e64 v71, s[0:1], s0, v84
	v_addc_co_u32_e64 v72, s[0:1], 0, v86, s[0:1]
	global_load_dword v83, v[71:72], off offset:324
	global_load_dword v107, v[71:72], off offset:648
	;; [unrolled: 1-line block ×9, first 2 shown]
	ds_read2_b32 v[75:76], v87 offset1:81
	global_load_dword v144, v[71:72], off offset:3240
	global_load_dword v145, v[71:72], off offset:3564
	s_movk_i32 s0, 0x2000
	v_add_co_u32_e64 v79, s[0:1], s0, v84
	s_waitcnt lgkmcnt(0)
	v_lshrrev_b32_e32 v143, 16, v75
	v_addc_co_u32_e64 v80, s[0:1], 0, v86, s[0:1]
	global_load_dword v84, v[79:80], off offset:1528
	global_load_dword v86, v[79:80], off offset:1852
	;; [unrolled: 1-line block ×4, first 2 shown]
	s_waitcnt vmcnt(15)
	v_mul_f16_sdwa v148, v143, v82 dst_sel:DWORD dst_unused:UNUSED_PAD src0_sel:DWORD src1_sel:WORD_1
	v_fma_f16 v148, v75, v82, -v148
	v_mul_f16_sdwa v75, v75, v82 dst_sel:DWORD dst_unused:UNUSED_PAD src0_sel:DWORD src1_sel:WORD_1
	v_fma_f16 v75, v143, v82, v75
	v_lshrrev_b32_e32 v82, 16, v76
	s_waitcnt vmcnt(14)
	v_mul_f16_sdwa v143, v82, v83 dst_sel:DWORD dst_unused:UNUSED_PAD src0_sel:DWORD src1_sel:WORD_1
	v_fma_f16 v143, v76, v83, -v143
	v_mul_f16_sdwa v76, v76, v83 dst_sel:DWORD dst_unused:UNUSED_PAD src0_sel:DWORD src1_sel:WORD_1
	v_fma_f16 v76, v82, v83, v76
	v_pack_b32_f16 v75, v148, v75
	v_pack_b32_f16 v76, v143, v76
	ds_write2_b32 v87, v75, v76 offset1:81
	ds_read2_b32 v[75:76], v87 offset0:162 offset1:243
	s_waitcnt lgkmcnt(0)
	v_lshrrev_b32_e32 v82, 16, v75
	s_waitcnt vmcnt(13)
	v_mul_f16_sdwa v83, v82, v107 dst_sel:DWORD dst_unused:UNUSED_PAD src0_sel:DWORD src1_sel:WORD_1
	v_fma_f16 v83, v75, v107, -v83
	v_mul_f16_sdwa v75, v75, v107 dst_sel:DWORD dst_unused:UNUSED_PAD src0_sel:DWORD src1_sel:WORD_1
	v_fma_f16 v75, v82, v107, v75
	v_lshrrev_b32_e32 v107, 16, v76
	s_waitcnt vmcnt(12)
	v_mul_f16_sdwa v82, v107, v136 dst_sel:DWORD dst_unused:UNUSED_PAD src0_sel:DWORD src1_sel:WORD_1
	v_fma_f16 v143, v76, v136, -v82
	v_mul_f16_sdwa v76, v76, v136 dst_sel:DWORD dst_unused:UNUSED_PAD src0_sel:DWORD src1_sel:WORD_1
	v_fma_f16 v76, v107, v136, v76
	global_load_dword v107, v[79:80], off offset:2500
	v_pack_b32_f16 v75, v83, v75
	ds_read2_b32 v[82:83], v73 offset0:68 offset1:149
	v_pack_b32_f16 v76, v143, v76
	ds_write2_b32 v87, v75, v76 offset0:162 offset1:243
	s_waitcnt lgkmcnt(1)
	v_lshrrev_b32_e32 v75, 16, v82
	s_waitcnt vmcnt(12)
	v_mul_f16_sdwa v76, v75, v137 dst_sel:DWORD dst_unused:UNUSED_PAD src0_sel:DWORD src1_sel:WORD_1
	v_fma_f16 v76, v82, v137, -v76
	v_mul_f16_sdwa v82, v82, v137 dst_sel:DWORD dst_unused:UNUSED_PAD src0_sel:DWORD src1_sel:WORD_1
	v_fma_f16 v75, v75, v137, v82
	v_lshrrev_b32_e32 v79, 16, v83
	v_pack_b32_f16 v82, v76, v75
	s_waitcnt vmcnt(11)
	v_mul_f16_sdwa v75, v79, v138 dst_sel:DWORD dst_unused:UNUSED_PAD src0_sel:DWORD src1_sel:WORD_1
	v_fma_f16 v80, v83, v138, -v75
	ds_read2_b32 v[75:76], v74 offset0:102 offset1:183
	v_mul_f16_sdwa v83, v83, v138 dst_sel:DWORD dst_unused:UNUSED_PAD src0_sel:DWORD src1_sel:WORD_1
	v_fma_f16 v79, v79, v138, v83
	v_pack_b32_f16 v79, v80, v79
	ds_write2_b32 v73, v82, v79 offset0:68 offset1:149
	s_waitcnt lgkmcnt(1)
	v_lshrrev_b32_e32 v79, 16, v75
	s_waitcnt vmcnt(10)
	v_mul_f16_sdwa v80, v79, v139 dst_sel:DWORD dst_unused:UNUSED_PAD src0_sel:DWORD src1_sel:WORD_1
	v_fma_f16 v80, v75, v139, -v80
	v_mul_f16_sdwa v75, v75, v139 dst_sel:DWORD dst_unused:UNUSED_PAD src0_sel:DWORD src1_sel:WORD_1
	v_lshrrev_b32_e32 v82, 16, v76
	v_fma_f16 v75, v79, v139, v75
	s_waitcnt vmcnt(9)
	v_mul_f16_sdwa v79, v82, v140 dst_sel:DWORD dst_unused:UNUSED_PAD src0_sel:DWORD src1_sel:WORD_1
	v_pack_b32_f16 v75, v80, v75
	v_fma_f16 v83, v76, v140, -v79
	ds_read2_b32 v[79:80], v78 offset0:136 offset1:217
	v_mul_f16_sdwa v76, v76, v140 dst_sel:DWORD dst_unused:UNUSED_PAD src0_sel:DWORD src1_sel:WORD_1
	v_fma_f16 v76, v82, v140, v76
	v_pack_b32_f16 v76, v83, v76
	ds_write2_b32 v74, v75, v76 offset0:102 offset1:183
	s_waitcnt lgkmcnt(1)
	v_lshrrev_b32_e32 v75, 16, v79
	s_waitcnt vmcnt(8)
	v_mul_f16_sdwa v76, v75, v141 dst_sel:DWORD dst_unused:UNUSED_PAD src0_sel:DWORD src1_sel:WORD_1
	v_fma_f16 v76, v79, v141, -v76
	v_mul_f16_sdwa v79, v79, v141 dst_sel:DWORD dst_unused:UNUSED_PAD src0_sel:DWORD src1_sel:WORD_1
	v_fma_f16 v75, v75, v141, v79
	v_lshrrev_b32_e32 v82, 16, v80
	v_pack_b32_f16 v79, v76, v75
	s_waitcnt vmcnt(7)
	v_mul_f16_sdwa v75, v82, v142 dst_sel:DWORD dst_unused:UNUSED_PAD src0_sel:DWORD src1_sel:WORD_1
	v_fma_f16 v83, v80, v142, -v75
	ds_read2_b32 v[75:76], v77 offset0:42 offset1:123
	v_mul_f16_sdwa v80, v80, v142 dst_sel:DWORD dst_unused:UNUSED_PAD src0_sel:DWORD src1_sel:WORD_1
	v_fma_f16 v80, v82, v142, v80
	v_pack_b32_f16 v80, v83, v80
	ds_write2_b32 v78, v79, v80 offset0:136 offset1:217
	s_waitcnt lgkmcnt(1)
	v_lshrrev_b32_e32 v79, 16, v75
	s_waitcnt vmcnt(6)
	v_mul_f16_sdwa v80, v79, v144 dst_sel:DWORD dst_unused:UNUSED_PAD src0_sel:DWORD src1_sel:WORD_1
	v_fma_f16 v80, v75, v144, -v80
	v_mul_f16_sdwa v75, v75, v144 dst_sel:DWORD dst_unused:UNUSED_PAD src0_sel:DWORD src1_sel:WORD_1
	v_lshrrev_b32_e32 v82, 16, v76
	v_fma_f16 v75, v79, v144, v75
	s_waitcnt vmcnt(5)
	v_mul_f16_sdwa v79, v82, v145 dst_sel:DWORD dst_unused:UNUSED_PAD src0_sel:DWORD src1_sel:WORD_1
	v_pack_b32_f16 v75, v80, v75
	v_fma_f16 v83, v76, v145, -v79
	ds_read2_b32 v[79:80], v81 offset0:76 offset1:157
	v_mul_f16_sdwa v76, v76, v145 dst_sel:DWORD dst_unused:UNUSED_PAD src0_sel:DWORD src1_sel:WORD_1
	v_fma_f16 v76, v82, v145, v76
	v_pack_b32_f16 v76, v83, v76
	ds_write2_b32 v77, v75, v76 offset0:42 offset1:123
	s_waitcnt lgkmcnt(1)
	v_lshrrev_b32_e32 v75, 16, v79
	s_waitcnt vmcnt(1)
	v_mul_f16_sdwa v76, v75, v147 dst_sel:DWORD dst_unused:UNUSED_PAD src0_sel:DWORD src1_sel:WORD_1
	v_fma_f16 v76, v79, v147, -v76
	v_mul_f16_sdwa v79, v79, v147 dst_sel:DWORD dst_unused:UNUSED_PAD src0_sel:DWORD src1_sel:WORD_1
	v_fma_f16 v75, v75, v147, v79
	v_lshrrev_b32_e32 v82, 16, v80
	v_pack_b32_f16 v79, v76, v75
	v_mul_f16_sdwa v75, v82, v84 dst_sel:DWORD dst_unused:UNUSED_PAD src0_sel:DWORD src1_sel:WORD_1
	v_fma_f16 v83, v80, v84, -v75
	ds_read2_b32 v[75:76], v85 offset0:110 offset1:191
	v_mul_f16_sdwa v80, v80, v84 dst_sel:DWORD dst_unused:UNUSED_PAD src0_sel:DWORD src1_sel:WORD_1
	v_fma_f16 v80, v82, v84, v80
	v_pack_b32_f16 v80, v83, v80
	ds_write2_b32 v81, v79, v80 offset0:76 offset1:157
	s_waitcnt lgkmcnt(1)
	v_lshrrev_b32_e32 v79, 16, v75
	v_mul_f16_sdwa v80, v79, v86 dst_sel:DWORD dst_unused:UNUSED_PAD src0_sel:DWORD src1_sel:WORD_1
	v_fma_f16 v80, v75, v86, -v80
	v_mul_f16_sdwa v75, v75, v86 dst_sel:DWORD dst_unused:UNUSED_PAD src0_sel:DWORD src1_sel:WORD_1
	v_fma_f16 v75, v79, v86, v75
	v_lshrrev_b32_e32 v79, 16, v76
	ds_read_b32 v82, v87 offset:5184
	v_pack_b32_f16 v75, v80, v75
	v_mul_f16_sdwa v80, v79, v146 dst_sel:DWORD dst_unused:UNUSED_PAD src0_sel:DWORD src1_sel:WORD_1
	v_fma_f16 v80, v76, v146, -v80
	v_mul_f16_sdwa v76, v76, v146 dst_sel:DWORD dst_unused:UNUSED_PAD src0_sel:DWORD src1_sel:WORD_1
	v_fma_f16 v76, v79, v146, v76
	v_pack_b32_f16 v76, v80, v76
	ds_write2_b32 v85, v75, v76 offset0:110 offset1:191
	s_waitcnt lgkmcnt(1)
	v_lshrrev_b32_e32 v75, 16, v82
	s_waitcnt vmcnt(0)
	v_mul_f16_sdwa v76, v75, v107 dst_sel:DWORD dst_unused:UNUSED_PAD src0_sel:DWORD src1_sel:WORD_1
	v_mul_f16_sdwa v79, v82, v107 dst_sel:DWORD dst_unused:UNUSED_PAD src0_sel:DWORD src1_sel:WORD_1
	v_fma_f16 v76, v82, v107, -v76
	v_fma_f16 v75, v75, v107, v79
	v_pack_b32_f16 v75, v76, v75
	ds_write_b32 v87, v75 offset:5184
	s_and_saveexec_b64 s[2:3], vcc
	s_cbranch_execz .LBB0_9
; %bb.8:
	global_load_dword v82, v[71:72], off offset:204
	global_load_dword v83, v[71:72], off offset:528
	;; [unrolled: 1-line block ×11, first 2 shown]
	v_add_co_u32_e64 v79, s[0:1], s14, v71
	ds_read2_b32 v[75:76], v87 offset0:51 offset1:132
	v_addc_co_u32_e64 v80, s[0:1], 0, v72, s[0:1]
	global_load_dword v146, v[71:72], off offset:3768
	global_load_dword v147, v[71:72], off offset:4092
	;; [unrolled: 1-line block ×6, first 2 shown]
	v_add_u32_e32 v143, 0x200, v87
	s_waitcnt lgkmcnt(0)
	v_lshrrev_b32_e32 v71, 16, v75
	v_lshrrev_b32_e32 v72, 16, v76
	v_add_u32_e32 v144, 0xa00, v87
	s_waitcnt vmcnt(16)
	v_mul_f16_sdwa v79, v71, v82 dst_sel:DWORD dst_unused:UNUSED_PAD src0_sel:DWORD src1_sel:WORD_1
	v_mul_f16_sdwa v80, v75, v82 dst_sel:DWORD dst_unused:UNUSED_PAD src0_sel:DWORD src1_sel:WORD_1
	s_waitcnt vmcnt(15)
	v_mul_f16_sdwa v136, v72, v83 dst_sel:DWORD dst_unused:UNUSED_PAD src0_sel:DWORD src1_sel:WORD_1
	v_mul_f16_sdwa v137, v76, v83 dst_sel:DWORD dst_unused:UNUSED_PAD src0_sel:DWORD src1_sel:WORD_1
	v_fma_f16 v75, v75, v82, -v79
	v_fma_f16 v71, v71, v82, v80
	v_fma_f16 v76, v76, v83, -v136
	v_fma_f16 v72, v72, v83, v137
	v_pack_b32_f16 v71, v75, v71
	v_pack_b32_f16 v72, v76, v72
	ds_write2_b32 v87, v71, v72 offset0:51 offset1:132
	ds_read2_b32 v[71:72], v143 offset0:85 offset1:166
	ds_read2_b32 v[75:76], v73 offset0:119 offset1:200
	;; [unrolled: 1-line block ×5, first 2 shown]
	s_waitcnt lgkmcnt(4)
	v_lshrrev_b32_e32 v152, 16, v71
	s_waitcnt vmcnt(14)
	v_mul_f16_sdwa v153, v71, v84 dst_sel:DWORD dst_unused:UNUSED_PAD src0_sel:DWORD src1_sel:WORD_1
	v_lshrrev_b32_e32 v154, 16, v72
	s_waitcnt vmcnt(13)
	v_mul_f16_sdwa v155, v72, v86 dst_sel:DWORD dst_unused:UNUSED_PAD src0_sel:DWORD src1_sel:WORD_1
	s_waitcnt lgkmcnt(3)
	v_lshrrev_b32_e32 v156, 16, v75
	s_waitcnt vmcnt(12)
	v_mul_f16_sdwa v157, v75, v107 dst_sel:DWORD dst_unused:UNUSED_PAD src0_sel:DWORD src1_sel:WORD_1
	v_lshrrev_b32_e32 v158, 16, v76
	s_waitcnt vmcnt(11)
	v_mul_f16_sdwa v159, v76, v138 dst_sel:DWORD dst_unused:UNUSED_PAD src0_sel:DWORD src1_sel:WORD_1
	;; [unrolled: 7-line block ×3, first 2 shown]
	s_waitcnt lgkmcnt(1)
	v_lshrrev_b32_e32 v164, 16, v82
	s_waitcnt vmcnt(8)
	v_mul_f16_sdwa v165, v82, v141 dst_sel:DWORD dst_unused:UNUSED_PAD src0_sel:DWORD src1_sel:WORD_1
	v_lshrrev_b32_e32 v166, 16, v83
	v_mul_f16_sdwa v168, v152, v84 dst_sel:DWORD dst_unused:UNUSED_PAD src0_sel:DWORD src1_sel:WORD_1
	v_fma_f16 v152, v152, v84, v153
	v_mul_f16_sdwa v153, v154, v86 dst_sel:DWORD dst_unused:UNUSED_PAD src0_sel:DWORD src1_sel:WORD_1
	s_waitcnt vmcnt(7)
	v_mul_f16_sdwa v167, v83, v142 dst_sel:DWORD dst_unused:UNUSED_PAD src0_sel:DWORD src1_sel:WORD_1
	v_fma_f16 v154, v154, v86, v155
	v_mul_f16_sdwa v155, v156, v107 dst_sel:DWORD dst_unused:UNUSED_PAD src0_sel:DWORD src1_sel:WORD_1
	v_fma_f16 v156, v156, v107, v157
	v_mul_f16_sdwa v157, v158, v138 dst_sel:DWORD dst_unused:UNUSED_PAD src0_sel:DWORD src1_sel:WORD_1
	v_fma_f16 v158, v158, v138, v159
	v_mul_f16_sdwa v159, v160, v139 dst_sel:DWORD dst_unused:UNUSED_PAD src0_sel:DWORD src1_sel:WORD_1
	v_fma_f16 v160, v160, v139, v161
	v_mul_f16_sdwa v161, v162, v140 dst_sel:DWORD dst_unused:UNUSED_PAD src0_sel:DWORD src1_sel:WORD_1
	v_fma_f16 v162, v162, v140, v163
	v_mul_f16_sdwa v163, v164, v141 dst_sel:DWORD dst_unused:UNUSED_PAD src0_sel:DWORD src1_sel:WORD_1
	v_fma_f16 v164, v164, v141, v165
	v_mul_f16_sdwa v165, v166, v142 dst_sel:DWORD dst_unused:UNUSED_PAD src0_sel:DWORD src1_sel:WORD_1
	v_fma_f16 v71, v71, v84, -v168
	v_fma_f16 v72, v72, v86, -v153
	v_fma_f16 v166, v166, v142, v167
	v_fma_f16 v75, v75, v107, -v155
	v_fma_f16 v76, v76, v138, -v157
	v_fma_f16 v79, v79, v139, -v159
	v_fma_f16 v80, v80, v140, -v161
	v_fma_f16 v82, v82, v141, -v163
	v_fma_f16 v83, v83, v142, -v165
	v_pack_b32_f16 v71, v71, v152
	v_pack_b32_f16 v72, v72, v154
	;; [unrolled: 1-line block ×8, first 2 shown]
	ds_write2_b32 v143, v71, v72 offset0:85 offset1:166
	ds_write2_b32 v73, v75, v76 offset0:119 offset1:200
	;; [unrolled: 1-line block ×4, first 2 shown]
	s_waitcnt lgkmcnt(4)
	v_lshrrev_b32_e32 v71, 16, v136
	s_waitcnt vmcnt(6)
	v_mul_f16_sdwa v72, v71, v145 dst_sel:DWORD dst_unused:UNUSED_PAD src0_sel:DWORD src1_sel:WORD_1
	v_mul_f16_sdwa v75, v136, v145 dst_sel:DWORD dst_unused:UNUSED_PAD src0_sel:DWORD src1_sel:WORD_1
	v_fma_f16 v72, v136, v145, -v72
	v_fma_f16 v71, v71, v145, v75
	v_lshrrev_b32_e32 v76, 16, v137
	v_pack_b32_f16 v75, v72, v71
	s_waitcnt vmcnt(5)
	v_mul_f16_sdwa v71, v76, v146 dst_sel:DWORD dst_unused:UNUSED_PAD src0_sel:DWORD src1_sel:WORD_1
	v_fma_f16 v79, v137, v146, -v71
	ds_read2_b32 v[71:72], v81 offset0:127 offset1:208
	v_mul_f16_sdwa v80, v137, v146 dst_sel:DWORD dst_unused:UNUSED_PAD src0_sel:DWORD src1_sel:WORD_1
	v_fma_f16 v76, v76, v146, v80
	v_pack_b32_f16 v76, v79, v76
	ds_write2_b32 v77, v75, v76 offset0:93 offset1:174
	s_waitcnt lgkmcnt(1)
	v_lshrrev_b32_e32 v75, 16, v71
	s_waitcnt vmcnt(4)
	v_mul_f16_sdwa v76, v75, v147 dst_sel:DWORD dst_unused:UNUSED_PAD src0_sel:DWORD src1_sel:WORD_1
	v_fma_f16 v76, v71, v147, -v76
	v_mul_f16_sdwa v71, v71, v147 dst_sel:DWORD dst_unused:UNUSED_PAD src0_sel:DWORD src1_sel:WORD_1
	v_lshrrev_b32_e32 v79, 16, v72
	v_fma_f16 v71, v75, v147, v71
	s_waitcnt vmcnt(3)
	v_mul_f16_sdwa v75, v79, v148 dst_sel:DWORD dst_unused:UNUSED_PAD src0_sel:DWORD src1_sel:WORD_1
	v_pack_b32_f16 v71, v76, v71
	v_fma_f16 v80, v72, v148, -v75
	ds_read2_b32 v[75:76], v85 offset0:161 offset1:242
	v_mul_f16_sdwa v72, v72, v148 dst_sel:DWORD dst_unused:UNUSED_PAD src0_sel:DWORD src1_sel:WORD_1
	v_fma_f16 v72, v79, v148, v72
	v_pack_b32_f16 v72, v80, v72
	ds_write2_b32 v81, v71, v72 offset0:127 offset1:208
	s_waitcnt lgkmcnt(1)
	v_lshrrev_b32_e32 v71, 16, v75
	s_waitcnt vmcnt(2)
	v_mul_f16_sdwa v72, v71, v149 dst_sel:DWORD dst_unused:UNUSED_PAD src0_sel:DWORD src1_sel:WORD_1
	v_fma_f16 v72, v75, v149, -v72
	v_mul_f16_sdwa v75, v75, v149 dst_sel:DWORD dst_unused:UNUSED_PAD src0_sel:DWORD src1_sel:WORD_1
	v_fma_f16 v71, v71, v149, v75
	v_pack_b32_f16 v71, v72, v71
	v_lshrrev_b32_e32 v72, 16, v76
	ds_read_b32 v79, v87 offset:5388
	s_waitcnt vmcnt(1)
	v_mul_f16_sdwa v75, v72, v150 dst_sel:DWORD dst_unused:UNUSED_PAD src0_sel:DWORD src1_sel:WORD_1
	v_fma_f16 v75, v76, v150, -v75
	v_mul_f16_sdwa v76, v76, v150 dst_sel:DWORD dst_unused:UNUSED_PAD src0_sel:DWORD src1_sel:WORD_1
	v_fma_f16 v72, v72, v150, v76
	v_pack_b32_f16 v72, v75, v72
	ds_write2_b32 v85, v71, v72 offset0:161 offset1:242
	s_waitcnt lgkmcnt(1)
	v_lshrrev_b32_e32 v71, 16, v79
	s_waitcnt vmcnt(0)
	v_mul_f16_sdwa v72, v71, v151 dst_sel:DWORD dst_unused:UNUSED_PAD src0_sel:DWORD src1_sel:WORD_1
	v_mul_f16_sdwa v75, v79, v151 dst_sel:DWORD dst_unused:UNUSED_PAD src0_sel:DWORD src1_sel:WORD_1
	v_fma_f16 v72, v79, v151, -v72
	v_fma_f16 v71, v71, v151, v75
	v_pack_b32_f16 v71, v72, v71
	ds_write_b32 v87, v71 offset:5388
.LBB0_9:
	s_or_b64 exec, exec, s[2:3]
	s_waitcnt lgkmcnt(0)
	; wave barrier
	s_waitcnt lgkmcnt(0)
	ds_read2_b32 v[71:72], v87 offset1:81
	ds_read2_b32 v[83:84], v87 offset0:162 offset1:243
	ds_read2_b32 v[79:80], v73 offset0:68 offset1:149
	;; [unrolled: 1-line block ×7, first 2 shown]
	ds_read_b32 v136, v87 offset:5184
	s_and_saveexec_b64 s[0:1], vcc
	s_cbranch_execz .LBB0_11
; %bb.10:
	v_add_u32_e32 v19, 0x200, v87
	ds_read2_b32 v[63:64], v19 offset0:85 offset1:166
	v_add_u32_e32 v19, 0x400, v87
	ds_read2_b32 v[65:66], v19 offset0:119 offset1:200
	v_add_u32_e32 v19, 0x800, v87
	ds_read2_b32 v[67:68], v19 offset0:25 offset1:106
	v_add_u32_e32 v19, 0xa00, v87
	ds_read2_b32 v[69:70], v19 offset0:59 offset1:140
	v_add_u32_e32 v19, 0xc00, v87
	ds_read2_b32 v[21:22], v19 offset0:93 offset1:174
	v_add_u32_e32 v19, 0xe00, v87
	v_add_u32_e32 v23, 0x1000, v87
	ds_read2_b32 v[61:62], v87 offset0:51 offset1:132
	ds_read2_b32 v[19:20], v19 offset0:127 offset1:208
	;; [unrolled: 1-line block ×3, first 2 shown]
	ds_read_b32 v108, v87 offset:5388
	s_waitcnt lgkmcnt(8)
	v_lshrrev_b32_e32 v128, 16, v63
	s_waitcnt lgkmcnt(3)
	v_lshrrev_b32_e32 v126, 16, v61
	v_lshrrev_b32_e32 v127, 16, v62
	;; [unrolled: 1-line block ×11, first 2 shown]
	s_waitcnt lgkmcnt(2)
	v_lshrrev_b32_e32 v114, 16, v19
	v_lshrrev_b32_e32 v113, 16, v20
	s_waitcnt lgkmcnt(1)
	v_lshrrev_b32_e32 v111, 16, v23
	v_lshrrev_b32_e32 v110, 16, v24
	s_waitcnt lgkmcnt(0)
	v_lshrrev_b32_e32 v115, 16, v108
.LBB0_11:
	s_or_b64 exec, exec, s[0:1]
	s_waitcnt lgkmcnt(8)
	v_pk_add_f16 v107, v71, v72
	s_waitcnt lgkmcnt(7)
	v_pk_add_f16 v107, v107, v83
	v_pk_add_f16 v107, v107, v84
	s_waitcnt lgkmcnt(6)
	v_pk_add_f16 v107, v107, v79
	;; [unrolled: 3-line block ×7, first 2 shown]
	v_pk_add_f16 v107, v107, v86
	s_waitcnt lgkmcnt(0)
	v_pk_add_f16 v137, v72, v136 neg_lo:[0,1] neg_hi:[0,1]
	s_mov_b32 s4, 0xb5c8
	v_pk_add_f16 v139, v107, v136
	v_pk_add_f16 v138, v136, v72
	v_pk_mul_f16 v107, v137, s4 op_sel_hi:[1,0]
	s_movk_i32 s2, 0x3b76
	s_mov_b32 s12, 0xb964
	v_pk_add_f16 v165, v83, v86 neg_lo:[0,1] neg_hi:[0,1]
	v_pk_fma_f16 v72, v138, s2, v107 op_sel:[0,0,1] op_sel_hi:[1,0,0]
	v_pk_fma_f16 v136, v138, s2, v107 op_sel:[0,0,1] op_sel_hi:[1,0,0] neg_lo:[0,0,1] neg_hi:[0,0,1]
	s_mov_b32 s0, 0xffff
	s_movk_i32 s3, 0x39e9
	v_pk_add_f16 v164, v86, v83
	v_pk_mul_f16 v86, v165, s12 op_sel_hi:[1,0]
	v_bfi_b32 v107, s0, v72, v136
	v_pk_fma_f16 v83, v164, s3, v86 op_sel:[0,0,1] op_sel_hi:[1,0,0]
	v_pk_fma_f16 v86, v164, s3, v86 op_sel:[0,0,1] op_sel_hi:[1,0,0] neg_lo:[0,0,1] neg_hi:[0,0,1]
	v_pk_add_f16 v107, v71, v107
	v_mul_f16_sdwa v140, v137, s12 dst_sel:DWORD dst_unused:UNUSED_PAD src0_sel:WORD_1 src1_sel:DWORD
	s_mov_b32 s16, 0xbbf7
	v_bfi_b32 v166, s0, v83, v86
	v_fma_f16 v141, v138, s3, v140
	s_movk_i32 s13, 0x2de8
	v_pk_add_f16 v107, v166, v107
	v_mul_f16_sdwa v166, v165, s16 dst_sel:DWORD dst_unused:UNUSED_PAD src0_sel:WORD_1 src1_sel:DWORD
	v_add_f16_e32 v141, v71, v141
	v_mul_f16_sdwa v142, v138, s3 dst_sel:DWORD dst_unused:UNUSED_PAD src0_sel:WORD_1 src1_sel:DWORD
	s_movk_i32 s23, 0x3964
	v_fma_f16 v140, v138, s3, -v140
	v_fma_f16 v167, v164, s13, v166
	v_fma_f16 v143, v137, s23, v142
	v_add_f16_e32 v140, v71, v140
	v_fma_f16 v142, v137, s12, v142
	s_mov_b32 s14, 0xbb29
	v_add_f16_e32 v141, v167, v141
	v_mul_f16_sdwa v167, v164, s13 dst_sel:DWORD dst_unused:UNUSED_PAD src0_sel:WORD_1 src1_sel:DWORD
	v_fma_f16 v166, v164, s13, -v166
	v_add_f16_sdwa v142, v71, v142 dst_sel:DWORD dst_unused:UNUSED_PAD src0_sel:WORD_1 src1_sel:DWORD
	v_mul_f16_sdwa v144, v137, s14 dst_sel:DWORD dst_unused:UNUSED_PAD src0_sel:WORD_1 src1_sel:DWORD
	s_movk_i32 s5, 0x3722
	s_mov_b32 s21, 0xba62
	v_add_f16_e32 v140, v166, v140
	v_fma_f16 v166, v165, s16, v167
	v_fma_f16 v145, v138, s5, v144
	s_movk_i32 s29, 0x3bf7
	s_mov_b32 s17, 0xb8d2
	v_add_f16_e32 v142, v166, v142
	v_mul_f16_sdwa v166, v165, s21 dst_sel:DWORD dst_unused:UNUSED_PAD src0_sel:WORD_1 src1_sel:DWORD
	v_add_f16_e32 v145, v71, v145
	v_mul_f16_sdwa v146, v138, s5 dst_sel:DWORD dst_unused:UNUSED_PAD src0_sel:WORD_1 src1_sel:DWORD
	s_movk_i32 s19, 0x3b29
	v_fma_f16 v144, v138, s5, -v144
	v_fma_f16 v168, v165, s29, v167
	v_fma_f16 v167, v164, s17, v166
	;; [unrolled: 1-line block ×3, first 2 shown]
	v_add_f16_e32 v144, v71, v144
	v_fma_f16 v146, v137, s14, v146
	v_add_f16_e32 v145, v167, v145
	v_mul_f16_sdwa v167, v164, s17 dst_sel:DWORD dst_unused:UNUSED_PAD src0_sel:WORD_1 src1_sel:DWORD
	v_fma_f16 v166, v164, s17, -v166
	v_add_f16_sdwa v146, v71, v146 dst_sel:DWORD dst_unused:UNUSED_PAD src0_sel:WORD_1 src1_sel:DWORD
	v_mul_f16_sdwa v148, v137, s16 dst_sel:DWORD dst_unused:UNUSED_PAD src0_sel:WORD_1 src1_sel:DWORD
	v_add_f16_e32 v144, v166, v144
	v_fma_f16 v166, v165, s21, v167
	s_mov_b32 s26, 0xb1e1
	v_add_f16_sdwa v143, v71, v143 dst_sel:DWORD dst_unused:UNUSED_PAD src0_sel:WORD_1 src1_sel:DWORD
	v_fma_f16 v149, v138, s13, v148
	s_movk_i32 s28, 0x3a62
	v_add_f16_e32 v146, v166, v146
	v_mul_f16_sdwa v166, v165, s26 dst_sel:DWORD dst_unused:UNUSED_PAD src0_sel:WORD_1 src1_sel:DWORD
	s_mov_b32 s25, 0xbbdd
	v_add_f16_e32 v149, v71, v149
	v_mul_f16_sdwa v150, v138, s13 dst_sel:DWORD dst_unused:UNUSED_PAD src0_sel:WORD_1 src1_sel:DWORD
	v_fma_f16 v148, v138, s13, -v148
	v_add_f16_e32 v143, v168, v143
	v_fma_f16 v168, v165, s28, v167
	v_fma_f16 v167, v164, s25, v166
	v_fma_f16 v151, v137, s29, v150
	v_add_f16_e32 v148, v71, v148
	v_fma_f16 v150, v137, s16, v150
	v_add_f16_e32 v149, v167, v149
	v_mul_f16_sdwa v167, v164, s25 dst_sel:DWORD dst_unused:UNUSED_PAD src0_sel:WORD_1 src1_sel:DWORD
	v_fma_f16 v166, v164, s25, -v166
	v_add_f16_sdwa v150, v71, v150 dst_sel:DWORD dst_unused:UNUSED_PAD src0_sel:WORD_1 src1_sel:DWORD
	v_mul_f16_sdwa v152, v137, s18 dst_sel:DWORD dst_unused:UNUSED_PAD src0_sel:WORD_1 src1_sel:DWORD
	s_mov_b32 s15, 0xb461
	s_movk_i32 s27, 0x3836
	v_add_f16_e32 v148, v166, v148
	v_fma_f16 v166, v165, s26, v167
	v_add_f16_sdwa v147, v71, v147 dst_sel:DWORD dst_unused:UNUSED_PAD src0_sel:WORD_1 src1_sel:DWORD
	v_fma_f16 v153, v138, s15, v152
	s_mov_b32 s20, 0xbacd
	s_movk_i32 s30, 0x31e1
	v_add_f16_e32 v150, v166, v150
	v_mul_f16_sdwa v166, v165, s27 dst_sel:DWORD dst_unused:UNUSED_PAD src0_sel:WORD_1 src1_sel:DWORD
	v_add_f16_e32 v153, v71, v153
	v_mul_f16_sdwa v154, v138, s15 dst_sel:DWORD dst_unused:UNUSED_PAD src0_sel:WORD_1 src1_sel:DWORD
	s_movk_i32 s24, 0x3bb2
	v_fma_f16 v152, v138, s15, -v152
	v_add_f16_e32 v147, v168, v147
	v_fma_f16 v168, v165, s30, v167
	v_fma_f16 v167, v164, s20, v166
	;; [unrolled: 1-line block ×3, first 2 shown]
	v_add_f16_e32 v152, v71, v152
	v_fma_f16 v154, v137, s18, v154
	v_add_f16_e32 v153, v167, v153
	v_mul_f16_sdwa v167, v164, s20 dst_sel:DWORD dst_unused:UNUSED_PAD src0_sel:WORD_1 src1_sel:DWORD
	v_fma_f16 v166, v164, s20, -v166
	v_add_f16_sdwa v154, v71, v154 dst_sel:DWORD dst_unused:UNUSED_PAD src0_sel:WORD_1 src1_sel:DWORD
	v_mul_f16_sdwa v156, v137, s21 dst_sel:DWORD dst_unused:UNUSED_PAD src0_sel:WORD_1 src1_sel:DWORD
	v_add_f16_e32 v152, v166, v152
	v_fma_f16 v166, v165, s27, v167
	v_add_f16_sdwa v151, v71, v151 dst_sel:DWORD dst_unused:UNUSED_PAD src0_sel:WORD_1 src1_sel:DWORD
	v_fma_f16 v157, v138, s17, v156
	s_mov_b32 s22, 0xb836
	v_add_f16_e32 v154, v166, v154
	v_mul_f16_sdwa v166, v165, s24 dst_sel:DWORD dst_unused:UNUSED_PAD src0_sel:WORD_1 src1_sel:DWORD
	v_add_f16_e32 v157, v71, v157
	v_mul_f16_sdwa v158, v138, s17 dst_sel:DWORD dst_unused:UNUSED_PAD src0_sel:WORD_1 src1_sel:DWORD
	v_fma_f16 v156, v138, s17, -v156
	v_add_f16_e32 v151, v168, v151
	v_fma_f16 v168, v165, s22, v167
	v_fma_f16 v167, v164, s15, v166
	;; [unrolled: 1-line block ×3, first 2 shown]
	v_add_f16_e32 v156, v71, v156
	v_fma_f16 v158, v137, s21, v158
	v_add_f16_e32 v157, v167, v157
	v_mul_f16_sdwa v167, v164, s15 dst_sel:DWORD dst_unused:UNUSED_PAD src0_sel:WORD_1 src1_sel:DWORD
	v_fma_f16 v166, v164, s15, -v166
	v_add_f16_sdwa v158, v71, v158 dst_sel:DWORD dst_unused:UNUSED_PAD src0_sel:WORD_1 src1_sel:DWORD
	v_mul_f16_sdwa v160, v137, s22 dst_sel:DWORD dst_unused:UNUSED_PAD src0_sel:WORD_1 src1_sel:DWORD
	v_add_f16_e32 v156, v166, v156
	v_fma_f16 v166, v165, s24, v167
	v_add_f16_sdwa v155, v71, v155 dst_sel:DWORD dst_unused:UNUSED_PAD src0_sel:WORD_1 src1_sel:DWORD
	v_fma_f16 v161, v138, s20, v160
	v_add_f16_e32 v158, v166, v158
	v_mul_f16_sdwa v166, v165, s19 dst_sel:DWORD dst_unused:UNUSED_PAD src0_sel:WORD_1 src1_sel:DWORD
	v_add_f16_e32 v161, v71, v161
	v_mul_f16_sdwa v162, v138, s20 dst_sel:DWORD dst_unused:UNUSED_PAD src0_sel:WORD_1 src1_sel:DWORD
	v_fma_f16 v160, v138, s20, -v160
	v_add_f16_e32 v155, v168, v155
	v_fma_f16 v168, v165, s18, v167
	v_fma_f16 v167, v164, s5, v166
	v_fma_f16 v163, v137, s27, v162
	v_add_f16_e32 v160, v71, v160
	v_fma_f16 v162, v137, s22, v162
	v_add_f16_e32 v161, v167, v161
	v_mul_f16_sdwa v167, v164, s5 dst_sel:DWORD dst_unused:UNUSED_PAD src0_sel:WORD_1 src1_sel:DWORD
	v_fma_f16 v166, v164, s5, -v166
	v_add_f16_sdwa v162, v71, v162 dst_sel:DWORD dst_unused:UNUSED_PAD src0_sel:WORD_1 src1_sel:DWORD
	v_add_f16_e32 v160, v166, v160
	v_fma_f16 v166, v165, s19, v167
	v_add_f16_e32 v162, v166, v162
	v_pk_add_f16 v166, v85, v84
	v_pk_add_f16 v84, v84, v85 neg_lo:[0,1] neg_hi:[0,1]
	v_add_f16_sdwa v159, v71, v159 dst_sel:DWORD dst_unused:UNUSED_PAD src0_sel:WORD_1 src1_sel:DWORD
	v_pk_mul_f16 v85, v84, s14 op_sel_hi:[1,0]
	v_add_f16_sdwa v163, v71, v163 dst_sel:DWORD dst_unused:UNUSED_PAD src0_sel:WORD_1 src1_sel:DWORD
	v_add_f16_e32 v159, v168, v159
	v_fma_f16 v168, v165, s14, v167
	v_pk_fma_f16 v167, v166, s5, v85 op_sel:[0,0,1] op_sel_hi:[1,0,0]
	v_pk_fma_f16 v85, v166, s5, v85 op_sel:[0,0,1] op_sel_hi:[1,0,0] neg_lo:[0,0,1] neg_hi:[0,0,1]
	v_add_f16_e32 v163, v168, v163
	v_bfi_b32 v168, s0, v167, v85
	v_pk_add_f16 v107, v168, v107
	v_mul_f16_sdwa v168, v84, s21 dst_sel:DWORD dst_unused:UNUSED_PAD src0_sel:WORD_1 src1_sel:DWORD
	v_fma_f16 v169, v166, s17, v168
	v_add_f16_e32 v141, v169, v141
	v_mul_f16_sdwa v169, v166, s17 dst_sel:DWORD dst_unused:UNUSED_PAD src0_sel:WORD_1 src1_sel:DWORD
	v_fma_f16 v168, v166, s17, -v168
	v_add_f16_e32 v140, v168, v140
	v_fma_f16 v168, v84, s21, v169
	v_add_f16_e32 v142, v168, v142
	v_mul_f16_sdwa v168, v84, s30 dst_sel:DWORD dst_unused:UNUSED_PAD src0_sel:WORD_1 src1_sel:DWORD
	v_fma_f16 v170, v84, s28, v169
	v_fma_f16 v169, v166, s25, v168
	v_add_f16_e32 v145, v169, v145
	v_mul_f16_sdwa v169, v166, s25 dst_sel:DWORD dst_unused:UNUSED_PAD src0_sel:WORD_1 src1_sel:DWORD
	v_fma_f16 v168, v166, s25, -v168
	v_add_f16_e32 v144, v168, v144
	v_fma_f16 v168, v84, s30, v169
	v_add_f16_e32 v146, v168, v146
	v_mul_f16_sdwa v168, v84, s24 dst_sel:DWORD dst_unused:UNUSED_PAD src0_sel:WORD_1 src1_sel:DWORD
	v_add_f16_e32 v143, v170, v143
	v_fma_f16 v170, v84, s26, v169
	v_fma_f16 v169, v166, s15, v168
	v_add_f16_e32 v149, v169, v149
	v_mul_f16_sdwa v169, v166, s15 dst_sel:DWORD dst_unused:UNUSED_PAD src0_sel:WORD_1 src1_sel:DWORD
	v_fma_f16 v168, v166, s15, -v168
	v_add_f16_e32 v148, v168, v148
	v_fma_f16 v168, v84, s24, v169
	v_add_f16_e32 v150, v168, v150
	v_mul_f16_sdwa v168, v84, s23 dst_sel:DWORD dst_unused:UNUSED_PAD src0_sel:WORD_1 src1_sel:DWORD
	v_add_f16_e32 v147, v170, v147
	;; [unrolled: 10-line block ×3, first 2 shown]
	v_fma_f16 v170, v84, s12, v169
	v_fma_f16 v169, v166, s2, v168
	v_add_f16_e32 v157, v169, v157
	v_mul_f16_sdwa v169, v166, s2 dst_sel:DWORD dst_unused:UNUSED_PAD src0_sel:WORD_1 src1_sel:DWORD
	v_fma_f16 v168, v166, s2, -v168
	v_add_f16_e32 v156, v168, v156
	v_fma_f16 v168, v84, s4, v169
	s_movk_i32 s31, 0x35c8
	v_add_f16_e32 v158, v168, v158
	v_mul_f16_sdwa v168, v84, s16 dst_sel:DWORD dst_unused:UNUSED_PAD src0_sel:WORD_1 src1_sel:DWORD
	v_add_f16_e32 v155, v170, v155
	v_fma_f16 v170, v84, s31, v169
	v_fma_f16 v169, v166, s13, v168
	v_add_f16_e32 v161, v169, v161
	v_mul_f16_sdwa v169, v166, s13 dst_sel:DWORD dst_unused:UNUSED_PAD src0_sel:WORD_1 src1_sel:DWORD
	v_fma_f16 v168, v166, s13, -v168
	v_add_f16_e32 v160, v168, v160
	v_fma_f16 v168, v84, s16, v169
	v_add_f16_e32 v162, v168, v162
	v_pk_add_f16 v168, v82, v79
	v_pk_add_f16 v79, v79, v82 neg_lo:[0,1] neg_hi:[0,1]
	v_pk_mul_f16 v82, v79, s16 op_sel_hi:[1,0]
	v_add_f16_e32 v159, v170, v159
	v_fma_f16 v170, v84, s29, v169
	v_pk_fma_f16 v169, v168, s13, v82 op_sel:[0,0,1] op_sel_hi:[1,0,0]
	v_pk_fma_f16 v82, v168, s13, v82 op_sel:[0,0,1] op_sel_hi:[1,0,0] neg_lo:[0,0,1] neg_hi:[0,0,1]
	v_add_f16_e32 v163, v170, v163
	v_bfi_b32 v170, s0, v169, v82
	v_pk_add_f16 v107, v170, v107
	v_mul_f16_sdwa v170, v79, s26 dst_sel:DWORD dst_unused:UNUSED_PAD src0_sel:WORD_1 src1_sel:DWORD
	v_fma_f16 v171, v168, s25, v170
	v_add_f16_e32 v141, v171, v141
	v_mul_f16_sdwa v171, v168, s25 dst_sel:DWORD dst_unused:UNUSED_PAD src0_sel:WORD_1 src1_sel:DWORD
	v_fma_f16 v170, v168, s25, -v170
	v_add_f16_e32 v140, v170, v140
	v_fma_f16 v170, v79, s26, v171
	v_add_f16_e32 v142, v170, v142
	v_mul_f16_sdwa v170, v79, s24 dst_sel:DWORD dst_unused:UNUSED_PAD src0_sel:WORD_1 src1_sel:DWORD
	v_fma_f16 v172, v79, s30, v171
	v_fma_f16 v171, v168, s15, v170
	v_add_f16_e32 v145, v171, v145
	v_mul_f16_sdwa v171, v168, s15 dst_sel:DWORD dst_unused:UNUSED_PAD src0_sel:WORD_1 src1_sel:DWORD
	v_fma_f16 v170, v168, s15, -v170
	v_add_f16_e32 v144, v170, v144
	v_fma_f16 v170, v79, s24, v171
	v_add_f16_e32 v146, v170, v146
	v_mul_f16_sdwa v170, v79, s31 dst_sel:DWORD dst_unused:UNUSED_PAD src0_sel:WORD_1 src1_sel:DWORD
	v_add_f16_e32 v143, v172, v143
	v_fma_f16 v172, v79, s18, v171
	v_fma_f16 v171, v168, s2, v170
	v_add_f16_e32 v149, v171, v149
	v_mul_f16_sdwa v171, v168, s2 dst_sel:DWORD dst_unused:UNUSED_PAD src0_sel:WORD_1 src1_sel:DWORD
	v_fma_f16 v170, v168, s2, -v170
	v_add_f16_e32 v148, v170, v148
	v_fma_f16 v170, v79, s31, v171
	v_add_f16_e32 v150, v170, v150
	v_mul_f16_sdwa v170, v79, s14 dst_sel:DWORD dst_unused:UNUSED_PAD src0_sel:WORD_1 src1_sel:DWORD
	v_add_f16_e32 v147, v172, v147
	;; [unrolled: 10-line block ×4, first 2 shown]
	v_fma_f16 v172, v79, s27, v171
	v_fma_f16 v171, v168, s17, v170
	v_add_f16_e32 v161, v171, v161
	v_mul_f16_sdwa v171, v168, s17 dst_sel:DWORD dst_unused:UNUSED_PAD src0_sel:WORD_1 src1_sel:DWORD
	v_fma_f16 v170, v168, s17, -v170
	v_add_f16_e32 v160, v170, v160
	v_fma_f16 v170, v79, s28, v171
	v_add_f16_e32 v162, v170, v162
	v_pk_add_f16 v170, v81, v80
	v_pk_add_f16 v80, v80, v81 neg_lo:[0,1] neg_hi:[0,1]
	v_pk_mul_f16 v81, v80, s18 op_sel_hi:[1,0]
	v_add_f16_e32 v159, v172, v159
	v_fma_f16 v172, v79, s21, v171
	v_pk_fma_f16 v171, v170, s15, v81 op_sel:[0,0,1] op_sel_hi:[1,0,0]
	v_pk_fma_f16 v81, v170, s15, v81 op_sel:[0,0,1] op_sel_hi:[1,0,0] neg_lo:[0,0,1] neg_hi:[0,0,1]
	v_add_f16_e32 v163, v172, v163
	v_bfi_b32 v172, s0, v171, v81
	v_pk_add_f16 v107, v172, v107
	v_mul_f16_sdwa v172, v80, s27 dst_sel:DWORD dst_unused:UNUSED_PAD src0_sel:WORD_1 src1_sel:DWORD
	v_fma_f16 v173, v170, s20, v172
	v_add_f16_e32 v141, v173, v141
	v_mul_f16_sdwa v173, v170, s20 dst_sel:DWORD dst_unused:UNUSED_PAD src0_sel:WORD_1 src1_sel:DWORD
	v_fma_f16 v172, v170, s20, -v172
	v_add_f16_e32 v140, v172, v140
	v_fma_f16 v172, v80, s27, v173
	v_add_f16_e32 v142, v172, v142
	v_mul_f16_sdwa v172, v80, s23 dst_sel:DWORD dst_unused:UNUSED_PAD src0_sel:WORD_1 src1_sel:DWORD
	v_fma_f16 v174, v80, s22, v173
	v_fma_f16 v173, v170, s3, v172
	v_add_f16_e32 v145, v173, v145
	v_mul_f16_sdwa v173, v170, s3 dst_sel:DWORD dst_unused:UNUSED_PAD src0_sel:WORD_1 src1_sel:DWORD
	v_fma_f16 v172, v170, s3, -v172
	v_add_f16_e32 v144, v172, v144
	v_fma_f16 v172, v80, s23, v173
	v_add_f16_e32 v146, v172, v146
	v_mul_f16_sdwa v172, v80, s14 dst_sel:DWORD dst_unused:UNUSED_PAD src0_sel:WORD_1 src1_sel:DWORD
	v_add_f16_e32 v143, v174, v143
	v_fma_f16 v174, v80, s12, v173
	v_fma_f16 v173, v170, s5, v172
	v_add_f16_e32 v149, v173, v149
	v_mul_f16_sdwa v173, v170, s5 dst_sel:DWORD dst_unused:UNUSED_PAD src0_sel:WORD_1 src1_sel:DWORD
	v_fma_f16 v172, v170, s5, -v172
	v_add_f16_e32 v148, v172, v148
	v_fma_f16 v172, v80, s14, v173
	v_add_f16_e32 v150, v172, v150
	v_mul_f16_sdwa v172, v80, s26 dst_sel:DWORD dst_unused:UNUSED_PAD src0_sel:WORD_1 src1_sel:DWORD
	v_add_f16_e32 v147, v174, v147
	;; [unrolled: 10-line block ×4, first 2 shown]
	v_fma_f16 v174, v80, s16, v173
	v_fma_f16 v173, v170, s2, v172
	v_add_f16_e32 v161, v173, v161
	v_mul_f16_sdwa v173, v170, s2 dst_sel:DWORD dst_unused:UNUSED_PAD src0_sel:WORD_1 src1_sel:DWORD
	v_fma_f16 v172, v170, s2, -v172
	v_add_f16_e32 v160, v172, v160
	v_fma_f16 v172, v80, s4, v173
	v_add_f16_e32 v162, v172, v162
	v_pk_add_f16 v172, v78, v75
	v_pk_add_f16 v75, v75, v78 neg_lo:[0,1] neg_hi:[0,1]
	v_pk_mul_f16 v78, v75, s21 op_sel_hi:[1,0]
	v_add_f16_e32 v159, v174, v159
	v_fma_f16 v174, v80, s31, v173
	v_pk_fma_f16 v173, v172, s17, v78 op_sel:[0,0,1] op_sel_hi:[1,0,0]
	v_pk_fma_f16 v78, v172, s17, v78 op_sel:[0,0,1] op_sel_hi:[1,0,0] neg_lo:[0,0,1] neg_hi:[0,0,1]
	v_add_f16_e32 v163, v174, v163
	v_bfi_b32 v174, s0, v173, v78
	v_pk_add_f16 v107, v174, v107
	v_mul_f16_sdwa v174, v75, s24 dst_sel:DWORD dst_unused:UNUSED_PAD src0_sel:WORD_1 src1_sel:DWORD
	v_fma_f16 v175, v172, s15, v174
	v_add_f16_e32 v141, v175, v141
	v_mul_f16_sdwa v175, v172, s15 dst_sel:DWORD dst_unused:UNUSED_PAD src0_sel:WORD_1 src1_sel:DWORD
	v_fma_f16 v174, v172, s15, -v174
	v_add_f16_e32 v140, v174, v140
	v_fma_f16 v174, v75, s24, v175
	v_add_f16_e32 v142, v174, v142
	v_mul_f16_sdwa v174, v75, s4 dst_sel:DWORD dst_unused:UNUSED_PAD src0_sel:WORD_1 src1_sel:DWORD
	v_fma_f16 v176, v75, s18, v175
	v_fma_f16 v175, v172, s2, v174
	v_add_f16_e32 v145, v175, v145
	v_mul_f16_sdwa v175, v172, s2 dst_sel:DWORD dst_unused:UNUSED_PAD src0_sel:WORD_1 src1_sel:DWORD
	v_fma_f16 v174, v172, s2, -v174
	v_add_f16_e32 v144, v174, v144
	v_fma_f16 v174, v75, s4, v175
	v_add_f16_e32 v146, v174, v146
	v_mul_f16_sdwa v174, v75, s22 dst_sel:DWORD dst_unused:UNUSED_PAD src0_sel:WORD_1 src1_sel:DWORD
	v_add_f16_e32 v143, v176, v143
	v_fma_f16 v176, v75, s31, v175
	v_fma_f16 v175, v172, s20, v174
	v_add_f16_e32 v149, v175, v149
	v_mul_f16_sdwa v175, v172, s20 dst_sel:DWORD dst_unused:UNUSED_PAD src0_sel:WORD_1 src1_sel:DWORD
	v_fma_f16 v174, v172, s20, -v174
	v_add_f16_e32 v148, v174, v148
	v_fma_f16 v174, v75, s22, v175
	v_add_f16_e32 v150, v174, v150
	v_mul_f16_sdwa v174, v75, s29 dst_sel:DWORD dst_unused:UNUSED_PAD src0_sel:WORD_1 src1_sel:DWORD
	v_add_f16_e32 v147, v176, v147
	;; [unrolled: 10-line block ×4, first 2 shown]
	v_fma_f16 v176, v75, s23, v175
	v_fma_f16 v175, v172, s25, v174
	v_add_f16_e32 v161, v175, v161
	v_mul_f16_sdwa v175, v172, s25 dst_sel:DWORD dst_unused:UNUSED_PAD src0_sel:WORD_1 src1_sel:DWORD
	v_fma_f16 v174, v172, s25, -v174
	v_add_f16_e32 v160, v174, v160
	v_fma_f16 v174, v75, s26, v175
	v_add_f16_e32 v162, v174, v162
	v_pk_add_f16 v174, v77, v76
	v_pk_add_f16 v76, v76, v77 neg_lo:[0,1] neg_hi:[0,1]
	v_pk_mul_f16 v77, v76, s22 op_sel_hi:[1,0]
	v_add_f16_e32 v159, v176, v159
	v_fma_f16 v176, v75, s30, v175
	v_pk_fma_f16 v175, v174, s20, v77 op_sel:[0,0,1] op_sel_hi:[1,0,0]
	v_pk_fma_f16 v77, v174, s20, v77 op_sel:[0,0,1] op_sel_hi:[1,0,0] neg_lo:[0,0,1] neg_hi:[0,0,1]
	v_add_f16_e32 v163, v176, v163
	v_bfi_b32 v176, s0, v175, v77
	v_pk_add_f16 v107, v176, v107
	v_mul_f16_sdwa v176, v76, s19 dst_sel:DWORD dst_unused:UNUSED_PAD src0_sel:WORD_1 src1_sel:DWORD
	v_fma_f16 v177, v174, s5, v176
	v_add_f16_e32 v141, v177, v141
	v_mul_f16_sdwa v177, v174, s5 dst_sel:DWORD dst_unused:UNUSED_PAD src0_sel:WORD_1 src1_sel:DWORD
	v_fma_f16 v176, v174, s5, -v176
	v_add_f16_e32 v140, v176, v140
	v_fma_f16 v176, v76, s19, v177
	v_add_f16_e32 v142, v176, v142
	v_mul_f16_sdwa v176, v76, s16 dst_sel:DWORD dst_unused:UNUSED_PAD src0_sel:WORD_1 src1_sel:DWORD
	v_fma_f16 v178, v76, s14, v177
	v_fma_f16 v177, v174, s13, v176
	v_add_f16_e32 v145, v177, v145
	v_mul_f16_sdwa v177, v174, s13 dst_sel:DWORD dst_unused:UNUSED_PAD src0_sel:WORD_1 src1_sel:DWORD
	v_fma_f16 v176, v174, s13, -v176
	v_add_f16_e32 v144, v176, v144
	v_fma_f16 v176, v76, s16, v177
	v_add_f16_e32 v146, v176, v146
	v_mul_f16_sdwa v176, v76, s28 dst_sel:DWORD dst_unused:UNUSED_PAD src0_sel:WORD_1 src1_sel:DWORD
	v_add_f16_e32 v143, v178, v143
	v_fma_f16 v178, v76, s29, v177
	v_fma_f16 v177, v174, s17, v176
	v_add_f16_e32 v149, v177, v149
	v_mul_f16_sdwa v177, v174, s17 dst_sel:DWORD dst_unused:UNUSED_PAD src0_sel:WORD_1 src1_sel:DWORD
	v_fma_f16 v176, v174, s17, -v176
	v_add_f16_e32 v148, v176, v148
	v_fma_f16 v176, v76, s28, v177
	v_add_f16_e32 v150, v176, v150
	v_mul_f16_sdwa v176, v76, s4 dst_sel:DWORD dst_unused:UNUSED_PAD src0_sel:WORD_1 src1_sel:DWORD
	v_add_f16_e32 v147, v178, v147
	;; [unrolled: 10-line block ×4, first 2 shown]
	v_fma_f16 v178, v76, s30, v177
	v_fma_f16 v177, v174, s3, v176
	v_add_f16_e32 v161, v177, v161
	v_mul_f16_sdwa v177, v174, s3 dst_sel:DWORD dst_unused:UNUSED_PAD src0_sel:WORD_1 src1_sel:DWORD
	v_fma_f16 v176, v174, s3, -v176
	v_add_f16_e32 v160, v176, v160
	v_fma_f16 v176, v76, s23, v177
	v_add_f16_e32 v162, v176, v162
	v_pk_add_f16 v176, v74, v73
	v_pk_add_f16 v73, v73, v74 neg_lo:[0,1] neg_hi:[0,1]
	v_pk_mul_f16 v74, v73, s26 op_sel_hi:[1,0]
	v_add_f16_e32 v159, v178, v159
	v_fma_f16 v178, v76, s12, v177
	v_pk_fma_f16 v177, v176, s25, v74 op_sel:[0,0,1] op_sel_hi:[1,0,0]
	v_pk_fma_f16 v74, v176, s25, v74 op_sel:[0,0,1] op_sel_hi:[1,0,0] neg_lo:[0,0,1] neg_hi:[0,0,1]
	v_add_f16_e32 v163, v178, v163
	v_bfi_b32 v178, s0, v177, v74
	v_pk_add_f16 v107, v178, v107
	v_mul_f16_sdwa v178, v73, s31 dst_sel:DWORD dst_unused:UNUSED_PAD src0_sel:WORD_1 src1_sel:DWORD
	v_fma_f16 v179, v176, s2, v178
	v_add_f16_e32 v141, v179, v141
	v_mul_f16_sdwa v179, v176, s2 dst_sel:DWORD dst_unused:UNUSED_PAD src0_sel:WORD_1 src1_sel:DWORD
	v_fma_f16 v178, v176, s2, -v178
	v_add_f16_e32 v140, v178, v140
	v_fma_f16 v178, v73, s31, v179
	v_add_f16_e32 v142, v178, v142
	v_mul_f16_sdwa v178, v73, s22 dst_sel:DWORD dst_unused:UNUSED_PAD src0_sel:WORD_1 src1_sel:DWORD
	v_fma_f16 v180, v73, s4, v179
	v_fma_f16 v179, v176, s20, v178
	v_add_f16_e32 v145, v179, v145
	v_mul_f16_sdwa v179, v176, s20 dst_sel:DWORD dst_unused:UNUSED_PAD src0_sel:WORD_1 src1_sel:DWORD
	v_fma_f16 v178, v176, s20, -v178
	v_add_f16_e32 v144, v178, v144
	v_fma_f16 v178, v73, s22, v179
	v_add_f16_e32 v146, v178, v146
	v_mul_f16_sdwa v178, v73, s23 dst_sel:DWORD dst_unused:UNUSED_PAD src0_sel:WORD_1 src1_sel:DWORD
	v_add_f16_e32 v143, v180, v143
	v_fma_f16 v180, v73, s27, v179
	v_fma_f16 v179, v176, s3, v178
	v_add_f16_e32 v149, v179, v149
	v_mul_f16_sdwa v179, v176, s3 dst_sel:DWORD dst_unused:UNUSED_PAD src0_sel:WORD_1 src1_sel:DWORD
	v_fma_f16 v178, v176, s3, -v178
	v_add_f16_e32 v148, v178, v148
	v_fma_f16 v178, v73, s23, v179
	v_add_f16_e32 v150, v178, v150
	v_mul_f16_sdwa v178, v73, s21 dst_sel:DWORD dst_unused:UNUSED_PAD src0_sel:WORD_1 src1_sel:DWORD
	v_add_f16_e32 v147, v180, v147
	;; [unrolled: 10-line block ×4, first 2 shown]
	v_fma_f16 v180, v73, s14, v179
	v_fma_f16 v179, v176, s15, v178
	v_add_f16_e32 v161, v179, v161
	v_mul_f16_sdwa v179, v176, s15 dst_sel:DWORD dst_unused:UNUSED_PAD src0_sel:WORD_1 src1_sel:DWORD
	s_waitcnt lgkmcnt(0)
	; wave barrier
	v_add_f16_e32 v159, v180, v159
	v_fma_f16 v180, v73, s24, v179
	ds_write2_b32 v106, v139, v107 offset1:1
	v_pack_b32_f16 v107, v145, v147
	v_pack_b32_f16 v139, v141, v143
	v_add_f16_e32 v163, v180, v163
	ds_write2_b32 v106, v139, v107 offset0:2 offset1:3
	v_pack_b32_f16 v107, v153, v155
	v_pack_b32_f16 v139, v149, v151
	ds_write2_b32 v106, v139, v107 offset0:4 offset1:5
	v_pack_b32_f16 v107, v161, v163
	v_pack_b32_f16 v139, v157, v159
	ds_write2_b32 v106, v139, v107 offset0:6 offset1:7
	v_pk_mul_f16 v107, v138, s25 op_sel_hi:[1,0]
	v_pk_fma_f16 v138, v137, s26, v107 op_sel:[0,0,1] op_sel_hi:[1,0,0]
	v_pk_fma_f16 v107, v137, s26, v107 op_sel:[0,0,1] op_sel_hi:[1,0,0] neg_lo:[1,0,0] neg_hi:[1,0,0]
	v_alignbit_b32 v137, s0, v71, 16
	v_alignbit_b32 v139, s0, v138, 16
	v_pk_add_f16 v137, v137, v138
	v_pk_mul_f16 v138, v164, s2 op_sel_hi:[1,0]
	v_pk_add_f16 v107, v71, v107 op_sel:[1,0] op_sel_hi:[0,1]
	v_pk_fma_f16 v141, v165, s31, v138 op_sel:[0,0,1] op_sel_hi:[1,0,0]
	v_pk_fma_f16 v138, v165, s31, v138 op_sel:[0,0,1] op_sel_hi:[1,0,0] neg_lo:[1,0,0] neg_hi:[1,0,0]
	v_pk_add_f16 v107, v138, v107
	v_pk_mul_f16 v138, v166, s20 op_sel_hi:[1,0]
	v_alignbit_b32 v143, s0, v141, 16
	v_pk_add_f16 v137, v141, v137
	v_pk_fma_f16 v141, v84, s22, v138 op_sel:[0,0,1] op_sel_hi:[1,0,0]
	v_pk_fma_f16 v84, v84, s22, v138 op_sel:[0,0,1] op_sel_hi:[1,0,0] neg_lo:[1,0,0] neg_hi:[1,0,0]
	v_pk_add_f16 v84, v84, v107
	v_pk_add_f16 v107, v141, v137
	v_pk_mul_f16 v137, v168, s3 op_sel_hi:[1,0]
	v_pk_fma_f16 v138, v79, s23, v137 op_sel:[0,0,1] op_sel_hi:[1,0,0]
	v_pk_fma_f16 v79, v79, s23, v137 op_sel:[0,0,1] op_sel_hi:[1,0,0] neg_lo:[1,0,0] neg_hi:[1,0,0]
	v_pk_add_f16 v79, v79, v84
	v_pk_add_f16 v84, v138, v107
	v_pk_mul_f16 v107, v170, s17 op_sel_hi:[1,0]
	v_pk_fma_f16 v137, v80, s21, v107 op_sel:[0,0,1] op_sel_hi:[1,0,0]
	v_pk_fma_f16 v80, v80, s21, v107 op_sel:[0,0,1] op_sel_hi:[1,0,0] neg_lo:[1,0,0] neg_hi:[1,0,0]
	v_pk_add_f16 v139, v71, v139
	v_pk_add_f16 v79, v80, v79
	;; [unrolled: 1-line block ×3, first 2 shown]
	v_pk_mul_f16 v84, v172, s5 op_sel_hi:[1,0]
	v_pk_add_f16 v139, v143, v139
	v_alignbit_b32 v143, s0, v141, 16
	v_pk_fma_f16 v107, v75, s19, v84 op_sel:[0,0,1] op_sel_hi:[1,0,0]
	v_pk_fma_f16 v75, v75, s19, v84 op_sel:[0,0,1] op_sel_hi:[1,0,0] neg_lo:[1,0,0] neg_hi:[1,0,0]
	v_pk_add_f16 v139, v143, v139
	v_alignbit_b32 v141, s0, v138, 16
	v_pk_add_f16 v75, v75, v79
	v_pk_add_f16 v79, v107, v80
	v_pk_mul_f16 v80, v174, s15 op_sel_hi:[1,0]
	v_pk_add_f16 v139, v141, v139
	v_alignbit_b32 v138, s0, v137, 16
	v_pk_fma_f16 v84, v76, s18, v80 op_sel:[0,0,1] op_sel_hi:[1,0,0]
	v_pk_fma_f16 v76, v76, s18, v80 op_sel:[0,0,1] op_sel_hi:[1,0,0] neg_lo:[1,0,0] neg_hi:[1,0,0]
	v_bfi_b32 v72, s0, v136, v72
	v_pk_add_f16 v138, v138, v139
	v_alignbit_b32 v137, s0, v107, 16
	v_pk_add_f16 v75, v76, v75
	v_pk_add_f16 v76, v84, v79
	v_pk_mul_f16 v79, v176, s13 op_sel_hi:[1,0]
	v_pk_add_f16 v71, v71, v72
	v_bfi_b32 v72, s0, v86, v83
	v_fma_f16 v178, v176, s15, -v178
	v_pk_add_f16 v137, v137, v138
	v_alignbit_b32 v107, s0, v84, 16
	v_pk_fma_f16 v80, v73, s29, v79 op_sel:[0,0,1] op_sel_hi:[1,0,0]
	v_pk_add_f16 v71, v72, v71
	v_bfi_b32 v72, s0, v85, v167
	v_add_f16_e32 v160, v178, v160
	v_fma_f16 v178, v73, s18, v179
	v_pk_add_f16 v107, v107, v137
	v_alignbit_b32 v84, s0, v80, 16
	v_pk_fma_f16 v73, v73, s29, v79 op_sel:[0,0,1] op_sel_hi:[1,0,0] neg_lo:[1,0,0] neg_hi:[1,0,0]
	v_pk_add_f16 v71, v72, v71
	v_bfi_b32 v72, s0, v82, v169
	v_pk_add_f16 v84, v84, v107
	v_pk_add_f16 v73, v73, v75
	;; [unrolled: 1-line block ×4, first 2 shown]
	v_bfi_b32 v72, s0, v81, v171
	v_add_f16_e32 v162, v178, v162
	v_alignbit_b32 v75, v75, v73, 16
	v_pack_b32_f16 v73, v84, v73
	v_pk_add_f16 v71, v72, v71
	v_bfi_b32 v72, s0, v78, v173
	ds_write2_b32 v106, v73, v75 offset0:8 offset1:9
	v_pack_b32_f16 v73, v156, v158
	v_pack_b32_f16 v75, v160, v162
	v_pk_add_f16 v71, v72, v71
	v_bfi_b32 v72, s0, v77, v175
	ds_write2_b32 v106, v75, v73 offset0:10 offset1:11
	v_pack_b32_f16 v73, v148, v150
	;; [unrolled: 5-line block ×3, first 2 shown]
	v_pack_b32_f16 v75, v144, v146
	v_pk_add_f16 v71, v72, v71
	ds_write2_b32 v106, v75, v73 offset0:14 offset1:15
	ds_write_b32 v106, v71 offset:64
	s_and_saveexec_b64 s[0:1], vcc
	s_cbranch_execz .LBB0_13
; %bb.12:
	v_sub_f16_e32 v72, v62, v108
	v_mul_f16_e32 v107, 0xb1e1, v72
	v_add_f16_e32 v142, v115, v127
	v_sub_f16_e32 v73, v63, v24
	v_fma_f16 v71, v142, s25, v107
	v_mul_f16_e32 v137, 0x35c8, v73
	v_add_f16_e32 v143, v110, v128
	v_add_f16_e32 v71, v126, v71
	v_fma_f16 v74, v143, s2, v137
	v_add_f16_e32 v71, v74, v71
	v_sub_f16_e32 v74, v64, v23
	v_mul_f16_e32 v138, 0xb836, v74
	v_add_f16_e32 v144, v111, v129
	v_fma_f16 v75, v144, s20, v138
	v_add_f16_e32 v71, v75, v71
	v_sub_f16_e32 v75, v65, v20
	v_mul_f16_e32 v139, 0x3964, v75
	;; [unrolled: 5-line block ×6, first 2 shown]
	v_add_f16_e32 v151, v135, v134
	v_fma_f16 v80, v151, s13, v150
	v_sub_f16_e32 v152, v127, v115
	v_add_f16_e32 v88, v80, v71
	v_add_f16_e32 v80, v108, v62
	v_mul_f16_e32 v153, 0xb1e1, v152
	v_fma_f16 v107, v142, s25, -v107
	v_fma_f16 v81, v80, s25, -v153
	v_sub_f16_e32 v154, v128, v110
	v_add_f16_e32 v107, v126, v107
	v_fma_f16 v137, v143, s2, -v137
	v_add_f16_e32 v82, v61, v81
	v_add_f16_e32 v81, v24, v63
	v_mul_f16_e32 v155, 0x35c8, v154
	v_add_f16_e32 v107, v137, v107
	v_fma_f16 v137, v144, s20, -v138
	v_fma_f16 v83, v81, s2, -v155
	v_sub_f16_e32 v156, v129, v111
	v_add_f16_e32 v107, v137, v107
	v_fma_f16 v137, v145, s3, -v139
	v_add_f16_e32 v83, v83, v82
	v_add_f16_e32 v82, v23, v64
	v_mul_f16_e32 v157, 0xb836, v156
	v_add_f16_e32 v107, v137, v107
	;; [unrolled: 9-line block ×4, first 2 shown]
	v_fma_f16 v107, v80, s25, v153
	v_fma_f16 v86, v85, s17, -v161
	v_sub_f16_e32 v162, v132, v112
	v_add_f16_e32 v107, v61, v107
	v_fma_f16 v138, v81, s2, v155
	v_add_f16_e32 v84, v86, v84
	v_add_f16_e32 v86, v22, v67
	v_mul_f16_e32 v163, 0x3b29, v162
	v_add_f16_e32 v107, v138, v107
	v_fma_f16 v138, v82, s20, v157
	v_fma_f16 v106, v86, s5, -v163
	v_sub_f16_e32 v164, v133, v109
	v_add_f16_e32 v107, v138, v107
	v_fma_f16 v138, v83, s3, v159
	v_add_f16_e32 v84, v106, v84
	v_add_f16_e32 v106, v21, v68
	v_mul_f16_e32 v165, 0xbbb2, v164
	v_add_f16_e32 v107, v138, v107
	;; [unrolled: 9-line block ×3, first 2 shown]
	v_fma_f16 v138, v106, s15, v165
	v_add_f16_e32 v107, v138, v107
	v_fma_f16 v138, v136, s13, v167
	v_add_f16_e32 v91, v138, v107
	v_mul_f16_e32 v107, 0xbacd, v142
	v_fma_f16 v139, v72, s27, v107
	v_mul_f16_e32 v148, 0x3722, v143
	v_add_f16_e32 v139, v126, v139
	v_fma_f16 v140, v73, s14, v148
	v_mul_f16_e32 v150, 0x2de8, v144
	v_add_f16_e32 v139, v140, v139
	;; [unrolled: 3-line block ×8, first 2 shown]
	v_fma_f16 v140, v80, s20, v163
	v_mul_f16_e32 v165, 0x3b29, v154
	v_fma_f16 v168, v136, s13, -v167
	v_add_f16_e32 v140, v61, v140
	v_fma_f16 v141, v81, s5, v165
	v_mul_f16_e32 v167, 0xbbf7, v156
	v_add_f16_e32 v89, v168, v84
	v_add_f16_e32 v140, v141, v140
	v_fma_f16 v141, v82, s13, v167
	v_mul_f16_e32 v168, 0x3a62, v158
	v_add_f16_e32 v140, v141, v140
	v_fma_f16 v141, v83, s17, v168
	v_mul_f16_e32 v169, 0xb5c8, v160
	;; [unrolled: 3-line block ×7, first 2 shown]
	v_add_f16_e32 v141, v126, v141
	v_fma_f16 v175, v73, s18, v174
	v_add_f16_e32 v141, v175, v141
	v_mul_f16_e32 v175, 0x3b76, v144
	v_fma_f16 v176, v74, s31, v175
	v_add_f16_e32 v141, v176, v141
	v_mul_f16_e32 v176, 0xbacd, v145
	;; [unrolled: 3-line block ×6, first 2 shown]
	buffer_store_dword v18, off, s[52:55], 0 offset:52 ; 4-byte Folded Spill
	v_mov_b32_e32 v18, v181
	v_fma_f16 v181, v79, s14, v180
	v_add_f16_e32 v94, v181, v141
	v_mul_f16_e32 v181, 0xba62, v152
	v_mov_b32_e32 v141, v182
	v_fma_f16 v182, v80, s17, v181
	v_mov_b32_e32 v140, v183
	v_mul_f16_e32 v183, 0x3bb2, v154
	v_add_f16_e32 v182, v61, v182
	v_mov_b32_e32 v139, v184
	v_fma_f16 v184, v81, s15, v183
	v_add_f16_e32 v182, v184, v182
	v_mul_f16_e32 v184, 0xb5c8, v156
	v_mov_b32_e32 v138, v185
	v_fma_f16 v185, v82, s2, v184
	v_add_f16_e32 v182, v185, v182
	v_mul_f16_e32 v185, 0xb836, v158
	v_mov_b32_e32 v137, v125
	v_mov_b32_e32 v125, v186
	v_fma_f16 v186, v83, s20, v185
	v_add_f16_e32 v182, v186, v182
	v_mul_f16_e32 v186, 0x3bf7, v160
	v_mov_b32_e32 v84, v187
	v_fma_f16 v187, v85, s13, v186
	v_add_f16_e32 v182, v187, v182
	v_mul_f16_e32 v187, 0xb964, v162
	;; [unrolled: 4-line block ×3, first 2 shown]
	v_fma_f16 v189, v106, s25, v188
	v_add_f16_e32 v182, v189, v182
	v_mul_f16_e32 v189, 0x3b29, v166
	v_fma_f16 v190, v136, s5, v189
	v_add_f16_e32 v182, v190, v182
	v_mul_f16_e32 v190, 0xb461, v142
	v_fma_f16 v191, v72, s24, v190
	v_mul_f16_e32 v192, 0xbacd, v143
	v_add_f16_e32 v191, v126, v191
	v_fma_f16 v193, v73, s22, v192
	v_add_f16_e32 v191, v193, v191
	v_mul_f16_e32 v193, 0x39e9, v144
	v_fma_f16 v194, v74, s12, v193
	v_add_f16_e32 v191, v194, v191
	v_mul_f16_e32 v194, 0x3722, v145
	;; [unrolled: 3-line block ×7, first 2 shown]
	v_fma_f16 v200, v80, s15, v199
	v_mul_f16_e32 v201, 0x3836, v154
	v_add_f16_e32 v200, v61, v200
	v_fma_f16 v202, v81, s20, v201
	v_add_f16_e32 v200, v202, v200
	v_mul_f16_e32 v202, 0x3964, v156
	v_fma_f16 v203, v82, s3, v202
	v_add_f16_e32 v200, v203, v200
	v_mul_f16_e32 v203, 0xbb29, v158
	;; [unrolled: 3-line block ×5, first 2 shown]
	v_fma_f16 v207, v106, s2, v206
	v_add_f16_e32 v62, v62, v61
	v_add_f16_e32 v200, v207, v200
	v_mul_f16_e32 v207, 0xba62, v166
	v_add_f16_e32 v62, v63, v62
	v_fma_f16 v208, v136, s17, v207
	v_add_f16_e32 v62, v64, v62
	v_add_f16_e32 v200, v208, v200
	v_mul_f16_e32 v208, 0x2de8, v142
	v_add_f16_e32 v62, v65, v62
	v_fma_f16 v209, v72, s29, v208
	v_mul_f16_e32 v210, 0xbbdd, v143
	v_add_f16_e32 v62, v66, v62
	v_add_f16_e32 v209, v126, v209
	v_fma_f16 v211, v73, s30, v210
	v_add_f16_e32 v62, v67, v62
	v_add_f16_e32 v209, v211, v209
	v_mul_f16_e32 v211, 0xb461, v144
	v_add_f16_e32 v62, v68, v62
	v_fma_f16 v212, v74, s18, v211
	v_add_f16_e32 v62, v69, v62
	v_add_f16_e32 v209, v212, v209
	v_mul_f16_e32 v212, 0x3b76, v145
	;; [unrolled: 5-line block ×3, first 2 shown]
	v_add_f16_e32 v21, v22, v21
	v_fma_f16 v214, v76, s19, v213
	v_add_f16_e32 v19, v19, v21
	v_fma_f16 v21, v72, s22, v107
	v_add_f16_e32 v209, v214, v209
	v_mul_f16_e32 v214, 0xbacd, v147
	v_add_f16_e32 v21, v126, v21
	v_fma_f16 v22, v73, s19, v148
	v_fma_f16 v215, v77, s27, v214
	v_add_f16_e32 v21, v22, v21
	v_fma_f16 v22, v74, s16, v150
	v_add_f16_e32 v209, v215, v209
	v_mul_f16_e32 v215, 0xb8d2, v149
	v_add_f16_e32 v21, v22, v21
	v_fma_f16 v22, v75, s28, v153
	;; [unrolled: 7-line block ×4, first 2 shown]
	v_fma_f16 v218, v80, s13, v217
	v_mul_f16_e32 v219, 0xb1e1, v154
	v_add_f16_e32 v19, v20, v19
	v_add_f16_e32 v21, v22, v21
	v_fma_f16 v22, v80, s20, -v163
	v_add_f16_e32 v218, v61, v218
	v_fma_f16 v220, v81, s25, v219
	v_add_f16_e32 v19, v23, v19
	v_add_f16_e32 v22, v61, v22
	v_fma_f16 v23, v81, s5, -v165
	v_add_f16_e32 v218, v220, v218
	v_mul_f16_e32 v220, 0x3bb2, v156
	v_add_f16_e32 v22, v23, v22
	v_fma_f16 v23, v82, s13, -v167
	v_fma_f16 v221, v82, s15, v220
	v_add_f16_e32 v22, v23, v22
	v_fma_f16 v23, v83, s17, -v168
	v_add_f16_e32 v218, v221, v218
	v_mul_f16_e32 v221, 0x35c8, v158
	v_add_f16_e32 v22, v23, v22
	v_fma_f16 v23, v85, s2, -v169
	v_fma_f16 v222, v83, s2, v221
	;; [unrolled: 7-line block ×3, first 2 shown]
	v_add_f16_e32 v22, v23, v22
	v_fma_f16 v23, v136, s15, -v172
	v_add_f16_e32 v218, v223, v218
	v_mul_f16_e32 v223, 0xb836, v162
	v_add_f16_e32 v22, v23, v22
	v_fma_f16 v23, v72, s21, v173
	v_fma_f16 v224, v86, s20, v223
	v_add_f16_e32 v19, v24, v19
	v_add_f16_e32 v23, v126, v23
	v_fma_f16 v24, v73, s24, v174
	v_add_f16_e32 v218, v224, v218
	v_mul_f16_e32 v224, 0x3a62, v164
	v_add_f16_e32 v23, v24, v23
	v_fma_f16 v24, v74, s4, v175
	v_fma_f16 v225, v106, s17, v224
	v_add_f16_e32 v23, v24, v23
	v_fma_f16 v24, v75, s22, v176
	v_add_f16_e32 v218, v225, v218
	v_mul_f16_e32 v225, 0x3964, v166
	v_add_f16_e32 v23, v24, v23
	v_fma_f16 v24, v76, s29, v177
	v_fma_f16 v226, v136, s3, v225
	;; [unrolled: 7-line block ×3, first 2 shown]
	v_mul_f16_e32 v228, 0xb8d2, v143
	v_add_f16_e32 v23, v24, v23
	v_fma_f16 v24, v79, s19, v180
	v_add_f16_e32 v227, v126, v227
	v_fma_f16 v229, v73, s28, v228
	v_add_f16_e32 v23, v24, v23
	v_fma_f16 v24, v80, s17, -v181
	v_add_f16_e32 v227, v229, v227
	v_mul_f16_e32 v229, 0xbbdd, v144
	v_add_f16_e32 v24, v61, v24
	v_fma_f16 v62, v81, s15, -v183
	v_fma_f16 v230, v74, s26, v229
	v_add_f16_e32 v24, v62, v24
	v_fma_f16 v62, v82, s2, -v184
	v_add_f16_e32 v227, v230, v227
	v_mul_f16_e32 v230, 0xb461, v145
	v_add_f16_e32 v24, v62, v24
	v_fma_f16 v62, v83, s20, -v185
	;; [unrolled: 7-line block ×4, first 2 shown]
	v_fma_f16 v233, v77, s31, v232
	v_add_f16_e32 v24, v62, v24
	v_fma_f16 v62, v72, s18, v190
	v_add_f16_e32 v227, v233, v227
	v_mul_f16_e32 v233, 0x2de8, v149
	v_add_f16_e32 v62, v126, v62
	v_fma_f16 v63, v73, s27, v192
	v_fma_f16 v234, v78, s29, v233
	v_add_f16_e32 v62, v63, v62
	v_fma_f16 v63, v74, s23, v193
	v_add_f16_e32 v227, v234, v227
	v_mul_f16_e32 v234, 0xbacd, v151
	v_add_f16_e32 v62, v63, v62
	v_fma_f16 v63, v75, s14, v194
	;; [unrolled: 7-line block ×3, first 2 shown]
	v_fma_f16 v236, v80, s5, v235
	v_mul_f16_e32 v237, 0xba62, v154
	v_add_f16_e32 v62, v63, v62
	v_fma_f16 v63, v78, s4, v197
	v_add_f16_e32 v236, v61, v236
	v_fma_f16 v238, v81, s17, v237
	v_add_f16_e32 v62, v63, v62
	v_fma_f16 v63, v79, s21, v198
	v_add_f16_e32 v236, v238, v236
	v_mul_f16_e32 v238, 0x31e1, v156
	v_add_f16_e32 v62, v63, v62
	v_fma_f16 v63, v80, s15, -v199
	v_fma_f16 v239, v82, s25, v238
	v_add_f16_e32 v63, v61, v63
	v_fma_f16 v64, v81, s20, -v201
	v_add_f16_e32 v236, v239, v236
	v_mul_f16_e32 v239, 0x3bb2, v158
	v_add_f16_e32 v63, v64, v63
	v_fma_f16 v64, v82, s3, -v202
	v_fma_f16 v240, v83, s15, v239
	v_add_f16_e32 v63, v64, v63
	v_fma_f16 v64, v83, s5, -v203
	;; [unrolled: 7-line block ×4, first 2 shown]
	v_add_f16_e32 v236, v242, v236
	v_mul_f16_e32 v242, 0xbbf7, v164
	v_add_f16_e32 v63, v64, v63
	v_fma_f16 v64, v72, s16, v208
	v_fma_f16 v243, v106, s13, v242
	v_add_f16_e32 v64, v126, v64
	v_fma_f16 v65, v73, s26, v210
	v_add_f16_e32 v236, v243, v236
	v_mul_f16_e32 v243, 0xb836, v166
	v_add_f16_e32 v64, v65, v64
	v_fma_f16 v65, v74, s24, v211
	v_fma_f16 v244, v136, s20, v243
	v_add_f16_e32 v64, v65, v64
	v_fma_f16 v65, v75, s31, v212
	v_add_f16_e32 v236, v244, v236
	v_mul_f16_e32 v244, 0x39e9, v142
	v_add_f16_e32 v64, v65, v64
	v_fma_f16 v65, v76, s14, v213
	v_fma_f16 v245, v72, s23, v244
	v_mul_f16_e32 v246, 0x2de8, v143
	v_add_f16_e32 v64, v65, v64
	v_fma_f16 v65, v77, s22, v214
	v_add_f16_e32 v245, v126, v245
	v_fma_f16 v247, v73, s29, v246
	;; [unrolled: 2-line block ×3, first 2 shown]
	v_add_f16_e32 v245, v247, v245
	v_mul_f16_e32 v247, 0xb8d2, v144
	v_add_f16_e32 v64, v65, v64
	v_fma_f16 v65, v79, s23, v216
	v_fma_f16 v248, v74, s28, v247
	v_add_f16_e32 v64, v65, v64
	v_fma_f16 v65, v80, s13, -v217
	v_add_f16_e32 v245, v248, v245
	v_mul_f16_e32 v248, 0xbbdd, v145
	v_add_f16_e32 v65, v61, v65
	v_fma_f16 v66, v81, s25, -v219
	v_fma_f16 v249, v75, s30, v248
	v_add_f16_e32 v65, v66, v65
	v_fma_f16 v66, v82, s15, -v220
	v_add_f16_e32 v245, v249, v245
	v_mul_f16_e32 v249, 0xbacd, v146
	v_add_f16_e32 v65, v66, v65
	v_fma_f16 v66, v83, s2, -v221
	v_fma_f16 v250, v76, s22, v249
	v_add_f16_e32 v65, v66, v65
	v_fma_f16 v66, v85, s5, -v222
	v_add_f16_e32 v245, v250, v245
	v_mul_f16_e32 v250, 0xb461, v147
	v_add_f16_e32 v65, v66, v65
	v_fma_f16 v66, v86, s20, -v223
	v_fma_f16 v251, v77, s18, v250
	v_add_f16_e32 v65, v66, v65
	v_fma_f16 v66, v106, s17, -v224
	v_add_f16_e32 v245, v251, v245
	v_mul_f16_e32 v251, 0x3722, v149
	v_add_f16_e32 v65, v66, v65
	v_fma_f16 v66, v136, s3, -v225
	v_fma_f16 v252, v78, s14, v251
	v_add_f16_e32 v65, v66, v65
	v_fma_f16 v66, v72, s14, v226
	v_add_f16_e32 v245, v252, v245
	v_mul_f16_e32 v252, 0x3b76, v151
	v_add_f16_e32 v66, v126, v66
	v_fma_f16 v67, v73, s21, v228
	v_fma_f16 v253, v79, s4, v252
	v_add_f16_e32 v66, v67, v66
	v_fma_f16 v67, v74, s30, v229
	v_add_f16_e32 v245, v253, v245
	v_mul_f16_e32 v253, 0xb964, v152
	v_add_f16_e32 v66, v67, v66
	v_fma_f16 v67, v75, s24, v230
	v_fma_f16 v254, v80, s3, v253
	v_mul_f16_e32 v255, 0xbbf7, v154
	v_add_f16_e32 v66, v67, v66
	v_fma_f16 v67, v76, s23, v231
	v_add_f16_e32 v254, v61, v254
	v_fma_f16 v116, v81, s13, v255
	;; [unrolled: 2-line block ×3, first 2 shown]
	v_add_f16_e32 v116, v116, v254
	v_mul_f16_e32 v254, 0xba62, v156
	v_add_f16_e32 v66, v67, v66
	v_fma_f16 v67, v78, s16, v233
	v_fma_f16 v117, v82, s17, v254
	v_add_f16_e32 v66, v67, v66
	v_fma_f16 v67, v79, s22, v234
	v_add_f16_e32 v116, v117, v116
	v_mul_f16_e32 v117, 0xb1e1, v158
	v_add_f16_e32 v66, v67, v66
	v_fma_f16 v67, v80, s5, -v235
	v_fma_f16 v118, v83, s25, v117
	v_add_f16_e32 v67, v61, v67
	v_fma_f16 v68, v81, s17, -v237
	v_add_f16_e32 v116, v118, v116
	v_mul_f16_e32 v118, 0x3836, v160
	v_add_f16_e32 v67, v68, v67
	v_fma_f16 v68, v82, s25, -v238
	v_fma_f16 v119, v85, s20, v118
	v_add_f16_e32 v67, v68, v67
	v_fma_f16 v68, v83, s15, -v239
	;; [unrolled: 7-line block ×4, first 2 shown]
	v_add_f16_e32 v116, v121, v116
	v_mul_f16_e32 v121, 0x35c8, v166
	v_add_f16_e32 v67, v68, v67
	v_fma_f16 v68, v72, s12, v244
	v_fma_f16 v122, v136, s2, v121
	v_add_f16_e32 v68, v126, v68
	v_fma_f16 v69, v73, s16, v246
	v_add_f16_e32 v116, v122, v116
	v_mul_f16_e32 v122, 0x3b76, v142
	v_add_f16_e32 v68, v69, v68
	v_fma_f16 v69, v74, s21, v247
	v_fma_f16 v142, v72, s31, v122
	v_mul_f16_e32 v143, 0x39e9, v143
	v_add_f16_e32 v68, v69, v68
	v_fma_f16 v69, v75, s26, v248
	v_add_f16_e32 v142, v126, v142
	v_fma_f16 v123, v73, s23, v143
	;; [unrolled: 2-line block ×3, first 2 shown]
	v_add_f16_e32 v123, v123, v142
	v_mul_f16_e32 v142, 0x3722, v144
	v_add_f16_e32 v68, v69, v68
	v_fma_f16 v69, v77, s24, v250
	v_fma_f16 v144, v74, s19, v142
	v_add_f16_e32 v68, v69, v68
	v_fma_f16 v69, v78, s19, v251
	v_add_f16_e32 v123, v144, v123
	v_mul_f16_e32 v144, 0x2de8, v145
	v_add_f16_e32 v68, v69, v68
	v_fma_f16 v69, v79, s31, v252
	v_fma_f16 v145, v75, s29, v144
	v_add_f16_e32 v68, v69, v68
	v_fma_f16 v69, v80, s3, -v253
	v_add_f16_e32 v123, v145, v123
	v_mul_f16_e32 v145, 0xb461, v146
	v_add_f16_e32 v69, v61, v69
	v_fma_f16 v70, v81, s13, -v255
	v_fma_f16 v146, v76, s24, v145
	v_add_f16_e32 v69, v70, v69
	v_fma_f16 v70, v82, s17, -v254
	v_add_f16_e32 v123, v146, v123
	v_mul_f16_e32 v146, 0xb8d2, v147
	v_add_f16_e32 v69, v70, v69
	v_fma_f16 v70, v83, s25, -v117
	;; [unrolled: 7-line block ×4, first 2 shown]
	v_fma_f16 v151, v79, s30, v149
	v_add_f16_e32 v69, v70, v69
	v_fma_f16 v70, v72, s4, v122
	v_add_f16_e32 v123, v151, v123
	v_mul_f16_e32 v151, 0xb5c8, v152
	v_add_f16_e32 v70, v126, v70
	v_fma_f16 v72, v73, s12, v143
	v_fma_f16 v152, v80, s2, v151
	v_mul_f16_e32 v154, 0xb964, v154
	v_add_f16_e32 v70, v72, v70
	v_fma_f16 v72, v74, s14, v142
	v_add_f16_e32 v152, v61, v152
	v_fma_f16 v124, v81, s3, v154
	;; [unrolled: 2-line block ×3, first 2 shown]
	v_add_f16_e32 v124, v124, v152
	v_mul_f16_e32 v152, 0xbb29, v156
	v_add_f16_e32 v70, v72, v70
	v_fma_f16 v72, v76, s18, v145
	v_fma_f16 v156, v82, s5, v152
	v_add_f16_e32 v70, v72, v70
	v_fma_f16 v72, v77, s21, v146
	v_add_f16_e32 v124, v156, v124
	v_mul_f16_e32 v156, 0xbbf7, v158
	v_add_f16_e32 v70, v72, v70
	v_fma_f16 v72, v78, s22, v147
	v_fma_f16 v158, v83, s13, v156
	v_add_f16_e32 v70, v72, v70
	v_fma_f16 v72, v79, s26, v149
	v_add_f16_e32 v124, v158, v124
	v_mul_f16_e32 v158, 0xbbb2, v160
	v_add_f16_e32 v70, v72, v70
	v_fma_f16 v72, v80, s2, -v151
	v_fma_f16 v160, v85, s15, v158
	v_add_f16_e32 v61, v61, v72
	v_fma_f16 v72, v81, s3, -v154
	v_add_f16_e32 v124, v160, v124
	v_mul_f16_e32 v160, 0xba62, v162
	v_add_f16_e32 v61, v72, v61
	v_fma_f16 v72, v82, s5, -v152
	v_fma_f16 v162, v86, s17, v160
	v_add_f16_e32 v61, v72, v61
	v_fma_f16 v72, v83, s13, -v156
	;; [unrolled: 7-line block ×3, first 2 shown]
	v_add_f16_e32 v124, v164, v124
	v_mul_f16_e32 v164, 0xb1e1, v166
	v_add_f16_e32 v61, v72, v61
	v_fma_f16 v72, v106, s20, -v162
	v_add_f16_e32 v61, v72, v61
	v_fma_f16 v72, v136, s25, -v164
	v_mov_b32_e32 v181, v18
	buffer_load_dword v18, off, s[52:55], 0 offset:52 ; 4-byte Folded Reload
	v_add_f16_e32 v61, v72, v61
	buffer_load_dword v72, off, s[52:55], 0 offset:48 ; 4-byte Folded Reload
	v_add_f16_e32 v20, v127, v126
	v_add_f16_e32 v20, v128, v20
	;; [unrolled: 1-line block ×14, first 2 shown]
	v_fma_f16 v166, v136, s25, v164
	v_add_f16_e32 v20, v110, v20
	v_add_f16_e32 v124, v166, v124
	v_add_f16_e32 v19, v108, v19
	v_add_f16_e32 v20, v115, v20
	v_pack_b32_f16 v73, v124, v123
	v_pack_b32_f16 v19, v19, v20
	;; [unrolled: 1-line block ×3, first 2 shown]
	v_mov_b32_e32 v183, v140
	v_mov_b32_e32 v184, v139
	;; [unrolled: 1-line block ×7, first 2 shown]
	s_waitcnt vmcnt(0)
	v_lshlrev_b32_e32 v72, 2, v72
	ds_write2_b32 v72, v19, v73 offset1:1
	v_pack_b32_f16 v19, v236, v227
	ds_write2_b32 v72, v20, v19 offset0:2 offset1:3
	v_pack_b32_f16 v19, v200, v191
	v_pack_b32_f16 v20, v218, v209
	ds_write2_b32 v72, v20, v19 offset0:4 offset1:5
	v_pack_b32_f16 v19, v93, v92
	;; [unrolled: 3-line block ×6, first 2 shown]
	v_pack_b32_f16 v20, v67, v66
	v_mov_b32_e32 v182, v141
	ds_write2_b32 v72, v20, v19 offset0:14 offset1:15
	v_pack_b32_f16 v19, v61, v70
	ds_write_b32 v72, v19 offset:64
.LBB0_13:
	s_or_b64 exec, exec, s[0:1]
	v_add_u32_e32 v23, 0x400, v87
	s_waitcnt lgkmcnt(0)
	; wave barrier
	s_waitcnt lgkmcnt(0)
	ds_read2_b32 v[63:64], v23 offset0:152 offset1:203
	v_add_u32_e32 v21, 0xc00, v87
	ds_read2_b32 v[65:66], v21 offset0:150 offset1:201
	v_add_u32_e32 v24, 0x600, v87
	ds_read2_b32 v[67:68], v24 offset0:126 offset1:177
	s_waitcnt lgkmcnt(2)
	v_lshrrev_b32_e32 v107, 16, v64
	v_mul_f16_sdwa v135, v25, v107 dst_sel:DWORD dst_unused:UNUSED_PAD src0_sel:WORD_1 src1_sel:DWORD
	s_waitcnt lgkmcnt(1)
	v_lshrrev_b32_e32 v108, 16, v65
	v_fma_f16 v135, v25, v64, v135
	v_mul_f16_sdwa v64, v25, v64 dst_sel:DWORD dst_unused:UNUSED_PAD src0_sel:WORD_1 src1_sel:DWORD
	v_fma_f16 v25, v25, v107, -v64
	v_mul_f16_sdwa v64, v26, v108 dst_sel:DWORD dst_unused:UNUSED_PAD src0_sel:WORD_1 src1_sel:DWORD
	s_waitcnt lgkmcnt(0)
	v_lshrrev_b32_e32 v110, 16, v67
	v_add_u32_e32 v20, 0xe00, v87
	v_fma_f16 v64, v26, v65, v64
	v_mul_f16_sdwa v65, v26, v65 dst_sel:DWORD dst_unused:UNUSED_PAD src0_sel:WORD_1 src1_sel:DWORD
	ds_read2_b32 v[71:72], v20 offset0:124 offset1:175
	v_fma_f16 v26, v26, v108, -v65
	v_mul_f16_sdwa v65, v27, v110 dst_sel:DWORD dst_unused:UNUSED_PAD src0_sel:WORD_1 src1_sel:DWORD
	v_lshrrev_b32_e32 v111, 16, v66
	v_add_u32_e32 v22, 0x800, v87
	v_fma_f16 v65, v27, v67, v65
	v_mul_f16_sdwa v67, v27, v67 dst_sel:DWORD dst_unused:UNUSED_PAD src0_sel:WORD_1 src1_sel:DWORD
	ds_read2_b32 v[73:74], v22 offset0:100 offset1:151
	v_fma_f16 v27, v27, v110, -v67
	v_mul_f16_sdwa v67, v28, v111 dst_sel:DWORD dst_unused:UNUSED_PAD src0_sel:WORD_1 src1_sel:DWORD
	v_lshrrev_b32_e32 v113, 16, v68
	v_fma_f16 v67, v28, v66, v67
	v_mul_f16_sdwa v66, v28, v66 dst_sel:DWORD dst_unused:UNUSED_PAD src0_sel:WORD_1 src1_sel:DWORD
	v_fma_f16 v28, v28, v111, -v66
	v_mul_f16_sdwa v66, v29, v113 dst_sel:DWORD dst_unused:UNUSED_PAD src0_sel:WORD_1 src1_sel:DWORD
	s_waitcnt lgkmcnt(1)
	v_lshrrev_b32_e32 v114, 16, v71
	v_fma_f16 v66, v29, v68, v66
	v_mul_f16_sdwa v68, v29, v68 dst_sel:DWORD dst_unused:UNUSED_PAD src0_sel:WORD_1 src1_sel:DWORD
	v_fma_f16 v29, v29, v113, -v68
	v_mul_f16_sdwa v68, v30, v114 dst_sel:DWORD dst_unused:UNUSED_PAD src0_sel:WORD_1 src1_sel:DWORD
	s_waitcnt lgkmcnt(0)
	v_lshrrev_b32_e32 v116, 16, v73
	v_add_u32_e32 v19, 0x1000, v87
	v_fma_f16 v68, v30, v71, v68
	v_mul_f16_sdwa v71, v30, v71 dst_sel:DWORD dst_unused:UNUSED_PAD src0_sel:WORD_1 src1_sel:DWORD
	ds_read2_b32 v[77:78], v19 offset0:98 offset1:149
	v_fma_f16 v30, v30, v114, -v71
	v_mul_f16_sdwa v71, v31, v116 dst_sel:DWORD dst_unused:UNUSED_PAD src0_sel:WORD_1 src1_sel:DWORD
	v_lshrrev_b32_e32 v117, 16, v72
	v_fma_f16 v71, v31, v73, v71
	v_mul_f16_sdwa v73, v31, v73 dst_sel:DWORD dst_unused:UNUSED_PAD src0_sel:WORD_1 src1_sel:DWORD
	ds_read2_b32 v[79:80], v22 offset0:202 offset1:253
	v_fma_f16 v31, v31, v116, -v73
	v_mul_f16_sdwa v73, v32, v117 dst_sel:DWORD dst_unused:UNUSED_PAD src0_sel:WORD_1 src1_sel:DWORD
	v_lshrrev_b32_e32 v119, 16, v74
	v_fma_f16 v73, v32, v72, v73
	v_mul_f16_sdwa v72, v32, v72 dst_sel:DWORD dst_unused:UNUSED_PAD src0_sel:WORD_1 src1_sel:DWORD
	v_fma_f16 v32, v32, v117, -v72
	v_mul_f16_sdwa v72, v33, v119 dst_sel:DWORD dst_unused:UNUSED_PAD src0_sel:WORD_1 src1_sel:DWORD
	s_waitcnt lgkmcnt(1)
	v_lshrrev_b32_e32 v120, 16, v77
	v_fma_f16 v72, v33, v74, v72
	v_mul_f16_sdwa v74, v33, v74 dst_sel:DWORD dst_unused:UNUSED_PAD src0_sel:WORD_1 src1_sel:DWORD
	v_fma_f16 v33, v33, v119, -v74
	v_mul_f16_sdwa v74, v34, v120 dst_sel:DWORD dst_unused:UNUSED_PAD src0_sel:WORD_1 src1_sel:DWORD
	s_waitcnt lgkmcnt(0)
	v_lshrrev_b32_e32 v122, 16, v79
	v_fma_f16 v74, v34, v77, v74
	v_mul_f16_sdwa v77, v34, v77 dst_sel:DWORD dst_unused:UNUSED_PAD src0_sel:WORD_1 src1_sel:DWORD
	ds_read2_b32 v[83:84], v19 offset0:200 offset1:251
	v_fma_f16 v34, v34, v120, -v77
	v_mul_f16_sdwa v77, v35, v122 dst_sel:DWORD dst_unused:UNUSED_PAD src0_sel:WORD_1 src1_sel:DWORD
	v_lshrrev_b32_e32 v123, 16, v78
	v_fma_f16 v77, v35, v79, v77
	v_mul_f16_sdwa v79, v35, v79 dst_sel:DWORD dst_unused:UNUSED_PAD src0_sel:WORD_1 src1_sel:DWORD
	ds_read2_b32 v[85:86], v21 offset0:48 offset1:99
	v_fma_f16 v35, v35, v122, -v79
	v_mul_f16_sdwa v79, v36, v123 dst_sel:DWORD dst_unused:UNUSED_PAD src0_sel:WORD_1 src1_sel:DWORD
	v_lshrrev_b32_e32 v126, 16, v80
	v_fma_f16 v79, v36, v78, v79
	v_mul_f16_sdwa v78, v36, v78 dst_sel:DWORD dst_unused:UNUSED_PAD src0_sel:WORD_1 src1_sel:DWORD
	v_fma_f16 v36, v36, v123, -v78
	v_mul_f16_sdwa v78, v37, v126 dst_sel:DWORD dst_unused:UNUSED_PAD src0_sel:WORD_1 src1_sel:DWORD
	s_waitcnt lgkmcnt(1)
	v_lshrrev_b32_e32 v127, 16, v83
	v_fma_f16 v78, v37, v80, v78
	v_mul_f16_sdwa v80, v37, v80 dst_sel:DWORD dst_unused:UNUSED_PAD src0_sel:WORD_1 src1_sel:DWORD
	v_fma_f16 v37, v37, v126, -v80
	v_mul_f16_sdwa v80, v38, v127 dst_sel:DWORD dst_unused:UNUSED_PAD src0_sel:WORD_1 src1_sel:DWORD
	s_waitcnt lgkmcnt(0)
	v_lshrrev_b32_e32 v130, 16, v85
	v_fma_f16 v80, v38, v83, v80
	v_mul_f16_sdwa v83, v38, v83 dst_sel:DWORD dst_unused:UNUSED_PAD src0_sel:WORD_1 src1_sel:DWORD
	ds_read_b32 v129, v87 offset:5304
	v_fma_f16 v38, v38, v127, -v83
	v_mul_f16_sdwa v83, v39, v130 dst_sel:DWORD dst_unused:UNUSED_PAD src0_sel:WORD_1 src1_sel:DWORD
	v_lshrrev_b32_e32 v131, 16, v84
	v_fma_f16 v83, v39, v85, v83
	v_mul_f16_sdwa v85, v39, v85 dst_sel:DWORD dst_unused:UNUSED_PAD src0_sel:WORD_1 src1_sel:DWORD
	ds_read2_b32 v[61:62], v87 offset1:51
	v_fma_f16 v39, v39, v130, -v85
	v_mul_f16_sdwa v85, v40, v131 dst_sel:DWORD dst_unused:UNUSED_PAD src0_sel:WORD_1 src1_sel:DWORD
	v_lshrrev_b32_e32 v133, 16, v86
	v_fma_f16 v85, v40, v84, v85
	v_mul_f16_sdwa v84, v40, v84 dst_sel:DWORD dst_unused:UNUSED_PAD src0_sel:WORD_1 src1_sel:DWORD
	v_fma_f16 v40, v40, v131, -v84
	v_mul_f16_sdwa v84, v41, v133 dst_sel:DWORD dst_unused:UNUSED_PAD src0_sel:WORD_1 src1_sel:DWORD
	s_waitcnt lgkmcnt(1)
	v_lshrrev_b32_e32 v134, 16, v129
	v_fma_f16 v84, v41, v86, v84
	v_mul_f16_sdwa v86, v41, v86 dst_sel:DWORD dst_unused:UNUSED_PAD src0_sel:WORD_1 src1_sel:DWORD
	v_fma_f16 v41, v41, v133, -v86
	v_mul_f16_sdwa v86, v42, v134 dst_sel:DWORD dst_unused:UNUSED_PAD src0_sel:WORD_1 src1_sel:DWORD
	v_mul_f16_sdwa v107, v42, v129 dst_sel:DWORD dst_unused:UNUSED_PAD src0_sel:WORD_1 src1_sel:DWORD
	v_add_f16_e32 v108, v135, v64
	s_waitcnt lgkmcnt(0)
	v_lshrrev_b32_e32 v106, 16, v61
	v_fma_f16 v86, v42, v129, v86
	v_fma_f16 v42, v42, v134, -v107
	v_add_f16_e32 v107, v61, v135
	v_fma_f16 v61, v108, -0.5, v61
	v_sub_f16_e32 v108, v25, v26
	s_mov_b32 s0, 0xbaee
	s_movk_i32 s1, 0x3aee
	ds_read2_b32 v[69:70], v87 offset0:102 offset1:153
	v_fma_f16 v110, v108, s0, v61
	v_fma_f16 v61, v108, s1, v61
	v_add_f16_e32 v108, v106, v25
	v_add_f16_e32 v25, v25, v26
	;; [unrolled: 1-line block ×3, first 2 shown]
	v_fma_f16 v25, v25, -0.5, v106
	v_sub_f16_e32 v26, v135, v64
	v_add_f16_e32 v106, v65, v67
	v_lshrrev_b32_e32 v109, 16, v62
	v_add_f16_e32 v107, v107, v64
	v_fma_f16 v64, v26, s1, v25
	v_fma_f16 v25, v26, s0, v25
	v_add_f16_e32 v26, v62, v65
	v_fma_f16 v62, v106, -0.5, v62
	v_sub_f16_e32 v106, v27, v28
	v_fma_f16 v111, v106, s0, v62
	v_fma_f16 v62, v106, s1, v62
	v_add_f16_e32 v106, v109, v27
	v_add_f16_e32 v27, v27, v28
	;; [unrolled: 1-line block ×4, first 2 shown]
	v_fma_f16 v27, v27, -0.5, v109
	v_sub_f16_e32 v28, v65, v67
	v_add_f16_e32 v67, v66, v68
	s_waitcnt lgkmcnt(0)
	v_lshrrev_b32_e32 v112, 16, v69
	v_fma_f16 v65, v28, s1, v27
	v_fma_f16 v27, v28, s0, v27
	v_add_f16_e32 v28, v69, v66
	v_fma_f16 v67, v67, -0.5, v69
	v_sub_f16_e32 v69, v29, v30
	ds_read2_b32 v[75:76], v87 offset0:204 offset1:255
	v_fma_f16 v109, v69, s0, v67
	v_fma_f16 v67, v69, s1, v67
	v_add_f16_e32 v69, v112, v29
	v_add_f16_e32 v29, v29, v30
	;; [unrolled: 1-line block ×4, first 2 shown]
	v_fma_f16 v29, v29, -0.5, v112
	v_sub_f16_e32 v30, v66, v68
	v_add_f16_e32 v68, v71, v73
	v_lshrrev_b32_e32 v115, 16, v70
	v_fma_f16 v66, v30, s1, v29
	v_fma_f16 v29, v30, s0, v29
	v_add_f16_e32 v30, v70, v71
	v_fma_f16 v68, v68, -0.5, v70
	v_sub_f16_e32 v70, v31, v32
	v_fma_f16 v112, v70, s0, v68
	v_fma_f16 v68, v70, s1, v68
	v_add_f16_e32 v70, v115, v31
	v_add_f16_e32 v31, v31, v32
	;; [unrolled: 1-line block ×4, first 2 shown]
	v_fma_f16 v31, v31, -0.5, v115
	v_sub_f16_e32 v32, v71, v73
	v_add_f16_e32 v73, v72, v74
	s_waitcnt lgkmcnt(0)
	v_lshrrev_b32_e32 v118, 16, v75
	v_fma_f16 v71, v32, s1, v31
	v_fma_f16 v31, v32, s0, v31
	v_add_f16_e32 v32, v75, v72
	v_fma_f16 v73, v73, -0.5, v75
	v_sub_f16_e32 v75, v33, v34
	ds_read2_b32 v[81:82], v23 offset0:50 offset1:101
	v_fma_f16 v113, v75, s0, v73
	v_fma_f16 v73, v75, s1, v73
	v_add_f16_e32 v75, v118, v33
	v_add_f16_e32 v33, v33, v34
	;; [unrolled: 1-line block ×4, first 2 shown]
	v_fma_f16 v33, v33, -0.5, v118
	v_sub_f16_e32 v34, v72, v74
	v_add_f16_e32 v74, v77, v79
	v_lshrrev_b32_e32 v121, 16, v76
	v_fma_f16 v72, v34, s1, v33
	v_fma_f16 v33, v34, s0, v33
	v_add_f16_e32 v34, v76, v77
	v_fma_f16 v74, v74, -0.5, v76
	v_sub_f16_e32 v76, v35, v36
	v_fma_f16 v114, v76, s0, v74
	v_fma_f16 v74, v76, s1, v74
	v_add_f16_e32 v76, v121, v35
	v_add_f16_e32 v35, v35, v36
	;; [unrolled: 1-line block ×4, first 2 shown]
	v_fma_f16 v35, v35, -0.5, v121
	v_sub_f16_e32 v36, v77, v79
	v_add_f16_e32 v79, v78, v80
	s_waitcnt lgkmcnt(0)
	v_lshrrev_b32_e32 v124, 16, v81
	v_fma_f16 v77, v36, s1, v35
	v_fma_f16 v35, v36, s0, v35
	v_add_f16_e32 v36, v81, v78
	v_fma_f16 v79, v79, -0.5, v81
	v_sub_f16_e32 v81, v37, v38
	v_fma_f16 v115, v81, s0, v79
	v_fma_f16 v79, v81, s1, v79
	v_add_f16_e32 v81, v124, v37
	v_add_f16_e32 v37, v37, v38
	;; [unrolled: 1-line block ×4, first 2 shown]
	v_fma_f16 v37, v37, -0.5, v124
	v_sub_f16_e32 v38, v78, v80
	v_add_f16_e32 v80, v83, v85
	v_lshrrev_b32_e32 v128, 16, v82
	v_fma_f16 v78, v38, s1, v37
	v_fma_f16 v37, v38, s0, v37
	v_add_f16_e32 v38, v82, v83
	v_fma_f16 v80, v80, -0.5, v82
	v_sub_f16_e32 v82, v39, v40
	v_fma_f16 v116, v82, s0, v80
	v_fma_f16 v80, v82, s1, v80
	v_add_f16_e32 v82, v128, v39
	v_add_f16_e32 v39, v39, v40
	;; [unrolled: 1-line block ×4, first 2 shown]
	v_fma_f16 v39, v39, -0.5, v128
	v_sub_f16_e32 v40, v83, v85
	v_add_f16_e32 v85, v84, v86
	v_lshrrev_b32_e32 v132, 16, v63
	v_fma_f16 v83, v40, s1, v39
	v_fma_f16 v39, v40, s0, v39
	v_add_f16_e32 v40, v63, v84
	v_fma_f16 v63, v85, -0.5, v63
	v_sub_f16_e32 v85, v41, v42
	v_fma_f16 v117, v85, s0, v63
	v_fma_f16 v63, v85, s1, v63
	v_add_f16_e32 v85, v132, v41
	v_add_f16_e32 v41, v41, v42
	;; [unrolled: 1-line block ×3, first 2 shown]
	v_fma_f16 v41, v41, -0.5, v132
	v_sub_f16_e32 v42, v84, v86
	v_pack_b32_f16 v25, v61, v25
	v_fma_f16 v84, v42, s1, v41
	v_fma_f16 v41, v42, s0, v41
	s_waitcnt lgkmcnt(0)
	; wave barrier
	v_pack_b32_f16 v42, v107, v108
	v_pack_b32_f16 v64, v110, v64
	ds_write_b32 v181, v25 offset:136
	v_pack_b32_f16 v25, v26, v106
	v_pack_b32_f16 v26, v111, v65
	ds_write2_b32 v181, v42, v64 offset1:17
	ds_write2_b32 v18, v25, v26 offset1:17
	v_pack_b32_f16 v25, v62, v27
	ds_write_b32 v18, v25 offset:136
	v_pack_b32_f16 v25, v28, v69
	v_pack_b32_f16 v26, v109, v66
	ds_write2_b32 v182, v25, v26 offset1:17
	v_pack_b32_f16 v25, v67, v29
	ds_write_b32 v182, v25 offset:136
	v_pack_b32_f16 v25, v30, v70
	v_pack_b32_f16 v26, v112, v71
	;; [unrolled: 5-line block ×6, first 2 shown]
	v_add_f16_e32 v40, v40, v86
	ds_write2_b32 v187, v25, v26 offset1:17
	v_pack_b32_f16 v25, v80, v39
	ds_write_b32 v187, v25 offset:136
	v_pack_b32_f16 v25, v40, v85
	v_pack_b32_f16 v26, v117, v84
	ds_write2_b32 v188, v25, v26 offset1:17
	v_pack_b32_f16 v25, v63, v41
	ds_write_b32 v188, v25 offset:136
	s_waitcnt lgkmcnt(0)
	; wave barrier
	s_waitcnt lgkmcnt(0)
	ds_read2_b32 v[25:26], v87 offset1:51
	ds_read2_b32 v[27:28], v87 offset0:102 offset1:153
	ds_read2_b32 v[29:30], v23 offset0:50 offset1:101
	;; [unrolled: 1-line block ×6, first 2 shown]
	s_waitcnt lgkmcnt(5)
	v_lshrrev_b32_e32 v70, 16, v28
	v_mul_f16_sdwa v116, v0, v70 dst_sel:DWORD dst_unused:UNUSED_PAD src0_sel:WORD_1 src1_sel:DWORD
	s_waitcnt lgkmcnt(4)
	v_lshrrev_b32_e32 v71, 16, v29
	v_fma_f16 v116, v0, v28, v116
	v_mul_f16_sdwa v28, v0, v28 dst_sel:DWORD dst_unused:UNUSED_PAD src0_sel:WORD_1 src1_sel:DWORD
	v_fma_f16 v28, v0, v70, -v28
	v_mul_f16_sdwa v70, v1, v71 dst_sel:DWORD dst_unused:UNUSED_PAD src0_sel:WORD_1 src1_sel:DWORD
	s_waitcnt lgkmcnt(3)
	v_lshrrev_b32_e32 v72, 16, v32
	v_fma_f16 v70, v1, v29, v70
	v_mul_f16_sdwa v29, v1, v29 dst_sel:DWORD dst_unused:UNUSED_PAD src0_sel:WORD_1 src1_sel:DWORD
	v_fma_f16 v29, v1, v71, -v29
	;; [unrolled: 6-line block ×3, first 2 shown]
	v_mul_f16_sdwa v72, v3, v73 dst_sel:DWORD dst_unused:UNUSED_PAD src0_sel:WORD_1 src1_sel:DWORD
	ds_read2_b32 v[39:40], v20 offset0:124 offset1:175
	ds_read2_b32 v[41:42], v19 offset0:200 offset1:251
	s_waitcnt lgkmcnt(3)
	v_lshrrev_b32_e32 v74, 16, v36
	v_fma_f16 v72, v3, v33, v72
	v_mul_f16_sdwa v33, v3, v33 dst_sel:DWORD dst_unused:UNUSED_PAD src0_sel:WORD_1 src1_sel:DWORD
	v_fma_f16 v33, v3, v73, -v33
	v_mul_f16_sdwa v73, v4, v74 dst_sel:DWORD dst_unused:UNUSED_PAD src0_sel:WORD_1 src1_sel:DWORD
	s_waitcnt lgkmcnt(2)
	v_lshrrev_b32_e32 v75, 16, v37
	v_fma_f16 v73, v4, v36, v73
	v_mul_f16_sdwa v36, v4, v36 dst_sel:DWORD dst_unused:UNUSED_PAD src0_sel:WORD_1 src1_sel:DWORD
	ds_read2_b32 v[61:62], v87 offset0:204 offset1:255
	v_fma_f16 v36, v4, v74, -v36
	v_mul_f16_sdwa v74, v5, v75 dst_sel:DWORD dst_unused:UNUSED_PAD src0_sel:WORD_1 src1_sel:DWORD
	s_waitcnt lgkmcnt(2)
	v_lshrrev_b32_e32 v76, 16, v40
	v_fma_f16 v74, v5, v37, v74
	v_mul_f16_sdwa v37, v5, v37 dst_sel:DWORD dst_unused:UNUSED_PAD src0_sel:WORD_1 src1_sel:DWORD
	v_fma_f16 v37, v5, v75, -v37
	v_mul_f16_sdwa v75, v6, v76 dst_sel:DWORD dst_unused:UNUSED_PAD src0_sel:WORD_1 src1_sel:DWORD
	s_waitcnt lgkmcnt(1)
	v_lshrrev_b32_e32 v77, 16, v41
	v_fma_f16 v75, v6, v40, v75
	v_mul_f16_sdwa v40, v6, v40 dst_sel:DWORD dst_unused:UNUSED_PAD src0_sel:WORD_1 src1_sel:DWORD
	ds_read2_b32 v[63:64], v24 offset0:126 offset1:177
	v_fma_f16 v40, v6, v76, -v40
	v_mul_f16_sdwa v76, v7, v77 dst_sel:DWORD dst_unused:UNUSED_PAD src0_sel:WORD_1 src1_sel:DWORD
	s_waitcnt lgkmcnt(1)
	v_lshrrev_b32_e32 v79, 16, v61
	v_fma_f16 v76, v7, v41, v76
	v_mul_f16_sdwa v41, v7, v41 dst_sel:DWORD dst_unused:UNUSED_PAD src0_sel:WORD_1 src1_sel:DWORD
	v_fma_f16 v41, v7, v77, -v41
	v_mul_f16_sdwa v77, v0, v79 dst_sel:DWORD dst_unused:UNUSED_PAD src0_sel:WORD_1 src1_sel:DWORD
	v_lshrrev_b32_e32 v80, 16, v30
	v_fma_f16 v77, v0, v61, v77
	v_mul_f16_sdwa v61, v0, v61 dst_sel:DWORD dst_unused:UNUSED_PAD src0_sel:WORD_1 src1_sel:DWORD
	ds_read2_b32 v[65:66], v21 offset0:48 offset1:99
	v_fma_f16 v0, v0, v79, -v61
	v_mul_f16_sdwa v61, v1, v80 dst_sel:DWORD dst_unused:UNUSED_PAD src0_sel:WORD_1 src1_sel:DWORD
	s_waitcnt lgkmcnt(1)
	v_lshrrev_b32_e32 v81, 16, v63
	v_fma_f16 v61, v1, v30, v61
	v_mul_f16_sdwa v30, v1, v30 dst_sel:DWORD dst_unused:UNUSED_PAD src0_sel:WORD_1 src1_sel:DWORD
	v_fma_f16 v1, v1, v80, -v30
	v_mul_f16_sdwa v30, v2, v81 dst_sel:DWORD dst_unused:UNUSED_PAD src0_sel:WORD_1 src1_sel:DWORD
	;; [unrolled: 12-line block ×3, first 2 shown]
	v_lshrrev_b32_e32 v84, 16, v38
	v_fma_f16 v34, v4, v65, v34
	v_mul_f16_sdwa v65, v4, v65 dst_sel:DWORD dst_unused:UNUSED_PAD src0_sel:WORD_1 src1_sel:DWORD
	v_fma_f16 v4, v4, v83, -v65
	v_mul_f16_sdwa v65, v5, v84 dst_sel:DWORD dst_unused:UNUSED_PAD src0_sel:WORD_1 src1_sel:DWORD
	s_waitcnt lgkmcnt(0)
	v_lshrrev_b32_e32 v85, 16, v67
	v_fma_f16 v65, v5, v38, v65
	v_mul_f16_sdwa v38, v5, v38 dst_sel:DWORD dst_unused:UNUSED_PAD src0_sel:WORD_1 src1_sel:DWORD
	v_fma_f16 v5, v5, v84, -v38
	v_mul_f16_sdwa v38, v6, v85 dst_sel:DWORD dst_unused:UNUSED_PAD src0_sel:WORD_1 src1_sel:DWORD
	v_lshrrev_b32_e32 v86, 16, v42
	v_fma_f16 v38, v6, v67, v38
	v_mul_f16_sdwa v67, v6, v67 dst_sel:DWORD dst_unused:UNUSED_PAD src0_sel:WORD_1 src1_sel:DWORD
	v_fma_f16 v6, v6, v85, -v67
	v_mul_f16_sdwa v67, v7, v86 dst_sel:DWORD dst_unused:UNUSED_PAD src0_sel:WORD_1 src1_sel:DWORD
	;; [unrolled: 5-line block ×6, first 2 shown]
	v_lshrrev_b32_e32 v112, 16, v66
	v_fma_f16 v64, v11, v35, v64
	v_mul_f16_sdwa v35, v11, v35 dst_sel:DWORD dst_unused:UNUSED_PAD src0_sel:WORD_1 src1_sel:DWORD
	ds_read_b32 v110, v87 offset:5304
	v_fma_f16 v11, v11, v111, -v35
	v_mul_f16_sdwa v35, v12, v112 dst_sel:DWORD dst_unused:UNUSED_PAD src0_sel:WORD_1 src1_sel:DWORD
	v_lshrrev_b32_e32 v113, 16, v39
	v_fma_f16 v35, v12, v66, v35
	v_mul_f16_sdwa v66, v12, v66 dst_sel:DWORD dst_unused:UNUSED_PAD src0_sel:WORD_1 src1_sel:DWORD
	v_fma_f16 v12, v12, v112, -v66
	v_mul_f16_sdwa v66, v13, v113 dst_sel:DWORD dst_unused:UNUSED_PAD src0_sel:WORD_1 src1_sel:DWORD
	v_lshrrev_b32_e32 v114, 16, v68
	v_fma_f16 v66, v13, v39, v66
	v_mul_f16_sdwa v39, v13, v39 dst_sel:DWORD dst_unused:UNUSED_PAD src0_sel:WORD_1 src1_sel:DWORD
	v_fma_f16 v13, v13, v113, -v39
	v_mul_f16_sdwa v39, v14, v114 dst_sel:DWORD dst_unused:UNUSED_PAD src0_sel:WORD_1 src1_sel:DWORD
	s_waitcnt lgkmcnt(0)
	v_lshrrev_b32_e32 v115, 16, v110
	v_fma_f16 v39, v14, v68, v39
	v_mul_f16_sdwa v68, v14, v68 dst_sel:DWORD dst_unused:UNUSED_PAD src0_sel:WORD_1 src1_sel:DWORD
	v_add_f16_e32 v80, v28, v41
	v_sub_f16_e32 v28, v28, v41
	v_fma_f16 v14, v14, v114, -v68
	v_mul_f16_sdwa v68, v15, v115 dst_sel:DWORD dst_unused:UNUSED_PAD src0_sel:WORD_1 src1_sel:DWORD
	v_mul_f16_sdwa v79, v15, v110 dst_sel:DWORD dst_unused:UNUSED_PAD src0_sel:WORD_1 src1_sel:DWORD
	v_add_f16_e32 v81, v70, v75
	v_add_f16_e32 v82, v29, v40
	v_add_f16_e32 v83, v71, v74
	v_sub_f16_e32 v41, v70, v75
	v_sub_f16_e32 v29, v29, v40
	;; [unrolled: 1-line block ×3, first 2 shown]
	v_mul_f16_e32 v70, 0x3924, v28
	s_movk_i32 s13, 0x3be1
	v_sub_f16_e32 v74, v33, v36
	v_fma_f16 v68, v15, v110, v68
	v_fma_f16 v15, v15, v115, -v79
	v_add_f16_e32 v79, v116, v76
	v_add_f16_e32 v84, v32, v37
	v_sub_f16_e32 v76, v116, v76
	v_sub_f16_e32 v32, v32, v37
	v_fma_f16 v70, v29, s13, v70
	v_mul_f16_e32 v109, 0xb924, v74
	v_mul_f16_e32 v37, 0x3924, v76
	v_fma_f16 v70, v32, s1, v70
	v_sub_f16_e32 v71, v72, v73
	s_movk_i32 s5, 0x3579
	v_fma_f16 v109, v28, s13, v109
	v_fma_f16 v37, v41, s13, v37
	;; [unrolled: 1-line block ×3, first 2 shown]
	s_mov_b32 s12, 0xb924
	v_mul_f16_e32 v108, 0xb924, v71
	v_fma_f16 v109, v32, s0, v109
	v_add_f16_e32 v113, v74, v28
	v_mul_f16_e32 v74, 0x3be1, v74
	v_fma_f16 v37, v40, s1, v37
	v_fma_f16 v108, v76, s13, v108
	;; [unrolled: 1-line block ×3, first 2 shown]
	v_sub_f16_e32 v113, v113, v29
	v_fma_f16 v29, v29, s12, -v74
	v_fma_f16 v37, v71, s5, v37
	v_fma_f16 v108, v40, s0, v108
	v_add_f16_e32 v112, v71, v76
	v_add_f16_e32 v118, v81, v79
	v_mul_f16_e32 v71, 0x3be1, v71
	v_fma_f16 v29, v32, s1, v29
	v_fma_f16 v108, v41, s5, v108
	v_sub_f16_e32 v112, v112, v41
	v_fma_f16 v41, v41, s12, -v71
	v_fma_f16 v28, v28, s5, v29
	v_add_f16_e32 v29, v83, v118
	v_add_f16_e32 v119, v82, v80
	v_fma_f16 v40, v40, s1, v41
	v_add_f16_e32 v29, v72, v29
	s_movk_i32 s2, 0x3a21
	v_add_f16_e32 v86, v72, v73
	v_fma_f16 v32, v76, s5, v40
	v_add_f16_e32 v40, v84, v119
	v_add_f16_e32 v29, v73, v29
	v_lshrrev_b32_e32 v69, 16, v25
	v_fma_f16 v75, v79, s2, v25
	s_movk_i32 s3, 0x318f
	v_add_f16_e32 v107, v33, v36
	v_fma_f16 v110, v86, s2, v25
	v_add_f16_e32 v116, v83, v25
	v_add_f16_e32 v33, v33, v40
	;; [unrolled: 1-line block ×3, first 2 shown]
	v_fma_f16 v25, v81, s2, v25
	v_add_f16_e32 v33, v36, v33
	v_fma_f16 v36, v82, s2, v69
	v_fma_f16 v25, v86, s3, v25
	v_add_f16_e32 v40, v77, v67
	v_sub_f16_e32 v67, v77, v67
	v_fma_f16 v85, v80, s2, v69
	s_mov_b32 s4, 0xbb84
	v_fma_f16 v111, v107, s2, v69
	v_add_f16_e32 v117, v84, v69
	v_add_f16_e32 v33, v33, v69
	v_fma_f16 v36, v107, s3, v36
	v_fma_f16 v25, v83, -0.5, v25
	v_add_f16_e32 v41, v0, v7
	v_add_f16_e32 v69, v61, v38
	;; [unrolled: 1-line block ×3, first 2 shown]
	v_sub_f16_e32 v0, v0, v7
	v_sub_f16_e32 v7, v61, v38
	;; [unrolled: 1-line block ×3, first 2 shown]
	v_mul_f16_e32 v5, 0x3924, v67
	v_sub_f16_e32 v38, v63, v34
	v_fma_f16 v110, v79, s3, v110
	v_fma_f16 v36, v84, -0.5, v36
	v_fma_f16 v25, v79, s4, v25
	v_add_f16_e32 v71, v1, v6
	v_add_f16_e32 v72, v30, v65
	v_sub_f16_e32 v1, v1, v6
	v_sub_f16_e32 v6, v30, v65
	v_mul_f16_e32 v30, 0x3924, v0
	v_fma_f16 v5, v7, s13, v5
	v_sub_f16_e32 v61, v3, v4
	v_mul_f16_e32 v79, 0xb924, v38
	v_fma_f16 v75, v81, s3, v75
	v_fma_f16 v111, v80, s3, v111
	v_fma_f16 v36, v80, s4, v36
	v_fma_f16 v30, v1, s13, v30
	v_fma_f16 v5, v6, s1, v5
	v_mul_f16_e32 v80, 0xb924, v61
	v_fma_f16 v79, v67, s13, v79
	v_fma_f16 v85, v82, s3, v85
	v_fma_f16 v75, v83, -0.5, v75
	v_fma_f16 v110, v83, -0.5, v110
	v_fma_f16 v30, v2, s1, v30
	v_fma_f16 v5, v38, s5, v5
	;; [unrolled: 1-line block ×4, first 2 shown]
	v_add_f16_e32 v83, v38, v67
	v_mul_f16_e32 v38, 0x3be1, v38
	v_fma_f16 v85, v84, -0.5, v85
	v_fma_f16 v111, v84, -0.5, v111
	v_fma_f16 v30, v61, s5, v30
	v_fma_f16 v80, v2, s0, v80
	;; [unrolled: 1-line block ×3, first 2 shown]
	v_add_f16_e32 v84, v61, v0
	v_sub_f16_e32 v83, v83, v7
	v_mul_f16_e32 v61, 0x3be1, v61
	v_fma_f16 v7, v7, s12, -v38
	v_add_f16_e32 v121, v107, v119
	v_fma_f16 v80, v1, s5, v80
	v_sub_f16_e32 v84, v84, v1
	v_add_f16_e32 v119, v71, v41
	v_fma_f16 v1, v1, s12, -v61
	v_fma_f16 v6, v6, s1, v7
	v_lshrrev_b32_e32 v78, 16, v26
	v_add_f16_e32 v120, v86, v118
	v_add_f16_e32 v118, v69, v40
	v_fma_f16 v1, v2, s1, v1
	v_fma_f16 v2, v67, s5, v6
	v_add_f16_e32 v6, v73, v119
	v_add_f16_e32 v77, v3, v4
	v_fma_f16 v0, v0, s5, v1
	v_add_f16_e32 v1, v72, v118
	v_add_f16_e32 v3, v3, v6
	;; [unrolled: 3-line block ×3, first 2 shown]
	v_add_f16_e32 v3, v4, v3
	v_fma_f16 v4, v69, s2, v26
	v_fma_f16 v6, v77, s3, v6
	;; [unrolled: 1-line block ×4, first 2 shown]
	v_fma_f16 v116, v120, -0.5, v116
	v_fma_f16 v81, v76, s2, v26
	v_fma_f16 v82, v77, s2, v78
	v_add_f16_e32 v1, v34, v1
	v_fma_f16 v4, v76, s3, v4
	v_fma_f16 v6, v73, -0.5, v6
	v_add_f16_e32 v7, v42, v68
	v_sub_f16_e32 v42, v42, v68
	v_mul_f16_e32 v115, 0x3aee, v113
	v_fma_f16 v113, v113, s0, v116
	v_fma_f16 v65, v40, s2, v26
	;; [unrolled: 1-line block ×5, first 2 shown]
	v_add_f16_e32 v116, v72, v26
	v_add_f16_e32 v1, v1, v26
	v_fma_f16 v4, v72, -0.5, v4
	v_fma_f16 v6, v41, s4, v6
	v_add_f16_e32 v26, v8, v15
	v_add_f16_e32 v34, v62, v39
	;; [unrolled: 1-line block ×3, first 2 shown]
	v_sub_f16_e32 v8, v8, v15
	v_sub_f16_e32 v15, v62, v39
	;; [unrolled: 1-line block ×3, first 2 shown]
	v_mul_f16_e32 v13, 0x3924, v42
	v_sub_f16_e32 v39, v64, v35
	v_fma_f16 v81, v72, -0.5, v81
	v_fma_f16 v4, v40, s4, v4
	v_add_f16_e32 v38, v9, v14
	v_add_f16_e32 v40, v31, v66
	v_sub_f16_e32 v9, v9, v14
	v_sub_f16_e32 v14, v31, v66
	v_mul_f16_e32 v31, 0x3924, v8
	v_fma_f16 v13, v15, s13, v13
	v_sub_f16_e32 v61, v11, v12
	v_mul_f16_e32 v68, 0xb924, v39
	v_fma_f16 v117, v121, -0.5, v117
	v_fma_f16 v65, v69, s3, v65
	v_fma_f16 v74, v71, s3, v74
	;; [unrolled: 1-line block ×5, first 2 shown]
	v_mul_f16_e32 v69, 0xb924, v61
	v_fma_f16 v68, v42, s13, v68
	v_mul_f16_e32 v114, 0x3aee, v112
	v_fma_f16 v112, v112, s1, v117
	v_fma_f16 v65, v72, -0.5, v65
	v_fma_f16 v74, v73, -0.5, v74
	;; [unrolled: 1-line block ×3, first 2 shown]
	v_add_f16_e32 v117, v73, v78
	v_fma_f16 v31, v10, s1, v31
	v_fma_f16 v13, v39, s5, v13
	;; [unrolled: 1-line block ×4, first 2 shown]
	v_add_f16_e32 v73, v39, v42
	v_mul_f16_e32 v39, 0x3be1, v39
	v_fma_f16 v65, v76, s4, v65
	v_add_f16_e32 v120, v76, v118
	v_fma_f16 v31, v61, s5, v31
	v_fma_f16 v69, v10, s0, v69
	;; [unrolled: 1-line block ×3, first 2 shown]
	v_add_f16_e32 v76, v61, v8
	v_sub_f16_e32 v73, v73, v15
	v_mul_f16_e32 v61, 0x3be1, v61
	v_fma_f16 v15, v15, s12, -v39
	v_add_f16_e32 v121, v77, v119
	v_fma_f16 v69, v9, s5, v69
	v_sub_f16_e32 v76, v76, v9
	v_add_f16_e32 v119, v38, v26
	v_fma_f16 v9, v9, s12, -v61
	v_fma_f16 v14, v14, s1, v15
	v_fma_f16 v9, v10, s1, v9
	v_fma_f16 v10, v42, s5, v14
	v_add_f16_e32 v14, v41, v119
	v_lshrrev_b32_e32 v106, 16, v27
	v_add_f16_e32 v67, v11, v12
	v_add_f16_e32 v11, v11, v14
	;; [unrolled: 1-line block ×4, first 2 shown]
	v_fma_f16 v12, v34, s2, v27
	v_fma_f16 v14, v38, s2, v106
	;; [unrolled: 1-line block ×6, first 2 shown]
	v_sub_f16_e32 v75, v75, v70
	v_add_f16_e32 v85, v37, v85
	v_fma_f16 v82, v71, s4, v82
	v_fma_f16 v71, v66, s2, v27
	v_fma_f16 v12, v40, -0.5, v12
	v_fma_f16 v14, v41, -0.5, v14
	v_sub_f16_e32 v110, v110, v109
	v_add_f16_e32 v111, v108, v111
	v_sub_f16_e32 v25, v25, v28
	v_add_f16_e32 v36, v32, v36
	v_fma_f16 v62, v7, s2, v27
	v_fma_f16 v71, v7, s3, v71
	v_add_f16_e32 v118, v34, v7
	v_fma_f16 v7, v7, s4, v12
	v_fma_f16 v12, v26, s4, v14
	v_pack_b32_f16 v14, v29, v33
	v_pack_b32_f16 v15, v75, v85
	v_fma_f16 v28, v28, 2.0, v25
	v_fma_f16 v32, v32, -2.0, v36
	s_waitcnt lgkmcnt(0)
	; wave barrier
	ds_write2_b32 v87, v14, v15 offset1:51
	v_pack_b32_f16 v14, v110, v111
	v_pack_b32_f16 v15, v113, v112
	v_fma_f16 v109, v109, 2.0, v110
	v_fma_f16 v108, v108, -2.0, v111
	v_fma_f16 v115, v115, 2.0, v113
	v_fma_f16 v114, v114, -2.0, v112
	ds_write2_b32 v87, v14, v15 offset0:102 offset1:153
	v_pack_b32_f16 v14, v25, v36
	v_pack_b32_f16 v15, v28, v32
	v_fma_f16 v70, v70, 2.0, v75
	v_fma_f16 v37, v37, -2.0, v85
	v_fma_f16 v74, v77, s4, v74
	v_add_f16_e32 v3, v3, v78
	ds_write2_b32 v87, v14, v15 offset0:204 offset1:255
	v_pack_b32_f16 v14, v115, v114
	v_pack_b32_f16 v15, v109, v108
	v_sub_f16_e32 v65, v65, v30
	v_add_f16_e32 v74, v5, v74
	v_sub_f16_e32 v81, v81, v80
	v_add_f16_e32 v82, v79, v82
	v_fma_f16 v116, v120, -0.5, v116
	v_fma_f16 v117, v121, -0.5, v117
	v_fma_f16 v63, v26, s2, v106
	ds_write2_b32 v23, v14, v15 offset0:50 offset1:101
	v_pack_b32_f16 v14, v70, v37
	v_pack_b32_f16 v1, v1, v3
	v_mul_f16_e32 v86, 0x3aee, v83
	v_mul_f16_e32 v107, 0x3aee, v84
	v_fma_f16 v84, v84, s0, v116
	v_fma_f16 v83, v83, s1, v117
	v_sub_f16_e32 v4, v4, v0
	v_add_f16_e32 v6, v2, v6
	v_fma_f16 v62, v34, s3, v62
	v_fma_f16 v63, v38, s3, v63
	;; [unrolled: 1-line block ×4, first 2 shown]
	v_add_f16_e32 v9, v40, v118
	ds_write2_b32 v23, v14, v1 offset0:152 offset1:203
	v_pack_b32_f16 v1, v65, v74
	v_pack_b32_f16 v3, v81, v82
	v_fma_f16 v107, v107, 2.0, v84
	v_fma_f16 v86, v86, -2.0, v83
	v_fma_f16 v0, v0, 2.0, v4
	v_fma_f16 v2, v2, -2.0, v6
	v_fma_f16 v62, v40, -0.5, v62
	;; [unrolled: 1-line block ×3, first 2 shown]
	v_fma_f16 v72, v26, s3, v72
	v_add_f16_e32 v9, v64, v9
	ds_write2_b32 v24, v1, v3 offset0:126 offset1:177
	v_pack_b32_f16 v1, v84, v83
	v_pack_b32_f16 v3, v4, v6
	v_fma_f16 v30, v30, 2.0, v65
	v_fma_f16 v5, v5, -2.0, v74
	v_fma_f16 v80, v80, 2.0, v81
	v_fma_f16 v79, v79, -2.0, v82
	v_fma_f16 v62, v66, s4, v62
	v_fma_f16 v63, v67, s4, v63
	v_fma_f16 v71, v40, -0.5, v71
	v_fma_f16 v72, v41, -0.5, v72
	v_add_f16_e32 v116, v40, v27
	v_add_f16_e32 v117, v41, v106
	;; [unrolled: 1-line block ×5, first 2 shown]
	ds_write2_b32 v22, v1, v3 offset0:100 offset1:151
	v_pack_b32_f16 v0, v0, v2
	v_pack_b32_f16 v1, v107, v86
	v_sub_f16_e32 v62, v62, v31
	v_add_f16_e32 v63, v13, v63
	v_fma_f16 v71, v34, s4, v71
	v_fma_f16 v72, v38, s4, v72
	v_fma_f16 v116, v120, -0.5, v116
	v_fma_f16 v117, v121, -0.5, v117
	v_add_f16_e32 v9, v9, v27
	v_add_f16_e32 v11, v11, v106
	ds_write2_b32 v22, v0, v1 offset0:202 offset1:253
	v_pack_b32_f16 v0, v80, v79
	v_pack_b32_f16 v1, v30, v5
	v_sub_f16_e32 v71, v71, v69
	v_add_f16_e32 v72, v68, v72
	v_mul_f16_e32 v77, 0x3aee, v73
	v_mul_f16_e32 v78, 0x3aee, v76
	v_fma_f16 v76, v76, s0, v116
	v_fma_f16 v73, v73, s1, v117
	v_sub_f16_e32 v7, v7, v8
	v_add_f16_e32 v12, v10, v12
	ds_write2_b32 v21, v0, v1 offset0:48 offset1:99
	v_pack_b32_f16 v0, v9, v11
	v_pack_b32_f16 v1, v62, v63
	v_add_u32_e32 v2, 0xc00, v125
	v_fma_f16 v8, v8, 2.0, v7
	v_fma_f16 v10, v10, -2.0, v12
	ds_write2_b32 v2, v0, v1 offset0:150 offset1:201
	v_pack_b32_f16 v0, v71, v72
	v_pack_b32_f16 v1, v76, v73
	v_add_u32_e32 v2, 0xe00, v125
	v_fma_f16 v69, v69, 2.0, v71
	v_fma_f16 v68, v68, -2.0, v72
	v_fma_f16 v78, v78, 2.0, v76
	v_fma_f16 v77, v77, -2.0, v73
	ds_write2_b32 v2, v0, v1 offset0:124 offset1:175
	v_pack_b32_f16 v0, v7, v12
	v_pack_b32_f16 v1, v8, v10
	v_add_u32_e32 v2, 0x1000, v125
	v_fma_f16 v31, v31, 2.0, v62
	v_fma_f16 v13, v13, -2.0, v63
	ds_write2_b32 v2, v0, v1 offset0:98 offset1:149
	v_pack_b32_f16 v0, v78, v77
	v_pack_b32_f16 v1, v69, v68
	ds_write2_b32 v2, v0, v1 offset0:200 offset1:251
	v_pack_b32_f16 v0, v31, v13
	ds_write_b32 v125, v0 offset:5304
	s_waitcnt lgkmcnt(0)
	; wave barrier
	s_waitcnt lgkmcnt(0)
	ds_read2_b32 v[0:1], v87 offset1:51
	ds_read2_b32 v[2:3], v23 offset0:152 offset1:203
	ds_read2_b32 v[4:5], v21 offset0:150 offset1:201
	;; [unrolled: 1-line block ×5, first 2 shown]
	s_waitcnt lgkmcnt(4)
	v_lshrrev_b32_e32 v36, 16, v3
	v_mul_f16_sdwa v81, v43, v36 dst_sel:DWORD dst_unused:UNUSED_PAD src0_sel:WORD_1 src1_sel:DWORD
	s_waitcnt lgkmcnt(3)
	v_lshrrev_b32_e32 v37, 16, v4
	v_fma_f16 v81, v43, v3, v81
	v_mul_f16_sdwa v3, v43, v3 dst_sel:DWORD dst_unused:UNUSED_PAD src0_sel:WORD_1 src1_sel:DWORD
	ds_read2_b32 v[25:26], v19 offset0:98 offset1:149
	ds_read2_b32 v[33:34], v21 offset0:48 offset1:99
	v_fma_f16 v3, v43, v36, -v3
	v_mul_f16_sdwa v36, v44, v37 dst_sel:DWORD dst_unused:UNUSED_PAD src0_sel:WORD_1 src1_sel:DWORD
	s_waitcnt lgkmcnt(4)
	v_lshrrev_b32_e32 v39, 16, v6
	ds_read2_b32 v[31:32], v19 offset0:200 offset1:251
	v_fma_f16 v36, v44, v4, v36
	v_mul_f16_sdwa v4, v44, v4 dst_sel:DWORD dst_unused:UNUSED_PAD src0_sel:WORD_1 src1_sel:DWORD
	v_fma_f16 v4, v44, v37, -v4
	v_mul_f16_sdwa v37, v45, v39 dst_sel:DWORD dst_unused:UNUSED_PAD src0_sel:WORD_1 src1_sel:DWORD
	v_lshrrev_b32_e32 v40, 16, v5
	ds_read2_b32 v[27:28], v22 offset0:202 offset1:253
	s_waitcnt lgkmcnt(5)
	v_lshrrev_b32_e32 v66, 16, v13
	v_fma_f16 v37, v45, v6, v37
	v_mul_f16_sdwa v6, v45, v6 dst_sel:DWORD dst_unused:UNUSED_PAD src0_sel:WORD_1 src1_sel:DWORD
	s_waitcnt lgkmcnt(4)
	v_lshrrev_b32_e32 v64, 16, v11
	v_fma_f16 v6, v45, v39, -v6
	v_mul_f16_sdwa v39, v46, v40 dst_sel:DWORD dst_unused:UNUSED_PAD src0_sel:WORD_1 src1_sel:DWORD
	v_mul_f16_sdwa v45, v51, v66 dst_sel:DWORD dst_unused:UNUSED_PAD src0_sel:WORD_1 src1_sel:DWORD
	s_waitcnt lgkmcnt(3)
	v_lshrrev_b32_e32 v67, 16, v25
	s_waitcnt lgkmcnt(2)
	v_lshrrev_b32_e32 v76, 16, v33
	v_fma_f16 v39, v46, v5, v39
	v_mul_f16_sdwa v5, v46, v5 dst_sel:DWORD dst_unused:UNUSED_PAD src0_sel:WORD_1 src1_sel:DWORD
	v_mul_f16_sdwa v44, v50, v64 dst_sel:DWORD dst_unused:UNUSED_PAD src0_sel:WORD_1 src1_sel:DWORD
	v_fma_f16 v45, v51, v13, v45
	v_mul_f16_sdwa v13, v51, v13 dst_sel:DWORD dst_unused:UNUSED_PAD src0_sel:WORD_1 src1_sel:DWORD
	v_lshrrev_b32_e32 v42, 16, v7
	s_waitcnt lgkmcnt(1)
	v_lshrrev_b32_e32 v73, 16, v31
	v_fma_f16 v5, v46, v40, -v5
	v_fma_f16 v44, v50, v11, v44
	v_mul_f16_sdwa v11, v50, v11 dst_sel:DWORD dst_unused:UNUSED_PAD src0_sel:WORD_1 src1_sel:DWORD
	v_fma_f16 v13, v51, v66, -v13
	v_mul_f16_sdwa v46, v52, v67 dst_sel:DWORD dst_unused:UNUSED_PAD src0_sel:WORD_1 src1_sel:DWORD
	v_mul_f16_sdwa v51, v57, v76 dst_sel:DWORD dst_unused:UNUSED_PAD src0_sel:WORD_1 src1_sel:DWORD
	v_lshrrev_b32_e32 v77, 16, v32
	v_mul_f16_sdwa v40, v47, v42 dst_sel:DWORD dst_unused:UNUSED_PAD src0_sel:WORD_1 src1_sel:DWORD
	v_fma_f16 v11, v50, v64, -v11
	v_fma_f16 v46, v52, v25, v46
	v_mul_f16_sdwa v25, v52, v25 dst_sel:DWORD dst_unused:UNUSED_PAD src0_sel:WORD_1 src1_sel:DWORD
	v_mul_f16_sdwa v50, v56, v73 dst_sel:DWORD dst_unused:UNUSED_PAD src0_sel:WORD_1 src1_sel:DWORD
	v_fma_f16 v51, v57, v33, v51
	v_mul_f16_sdwa v33, v57, v33 dst_sel:DWORD dst_unused:UNUSED_PAD src0_sel:WORD_1 src1_sel:DWORD
	s_waitcnt lgkmcnt(0)
	v_lshrrev_b32_e32 v69, 16, v27
	v_fma_f16 v40, v47, v7, v40
	v_mul_f16_sdwa v7, v47, v7 dst_sel:DWORD dst_unused:UNUSED_PAD src0_sel:WORD_1 src1_sel:DWORD
	v_fma_f16 v25, v52, v67, -v25
	v_fma_f16 v50, v56, v31, v50
	v_mul_f16_sdwa v31, v56, v31 dst_sel:DWORD dst_unused:UNUSED_PAD src0_sel:WORD_1 src1_sel:DWORD
	v_fma_f16 v33, v57, v76, -v33
	v_mul_f16_sdwa v52, v58, v77 dst_sel:DWORD dst_unused:UNUSED_PAD src0_sel:WORD_1 src1_sel:DWORD
	v_add_f16_e32 v57, v81, v36
	v_lshrrev_b32_e32 v35, 16, v0
	v_fma_f16 v7, v47, v42, -v7
	v_mul_f16_sdwa v47, v53, v69 dst_sel:DWORD dst_unused:UNUSED_PAD src0_sel:WORD_1 src1_sel:DWORD
	v_fma_f16 v31, v56, v73, -v31
	v_fma_f16 v52, v58, v32, v52
	v_mul_f16_sdwa v32, v58, v32 dst_sel:DWORD dst_unused:UNUSED_PAD src0_sel:WORD_1 src1_sel:DWORD
	v_add_f16_e32 v56, v0, v81
	v_fma_f16 v0, v57, -0.5, v0
	v_sub_f16_e32 v57, v3, v4
	v_lshrrev_b32_e32 v79, 16, v34
	v_fma_f16 v47, v53, v27, v47
	v_mul_f16_sdwa v27, v53, v27 dst_sel:DWORD dst_unused:UNUSED_PAD src0_sel:WORD_1 src1_sel:DWORD
	v_fma_f16 v32, v58, v77, -v32
	v_fma_f16 v58, v57, s0, v0
	v_fma_f16 v0, v57, s1, v0
	v_add_f16_e32 v57, v35, v3
	v_add_f16_e32 v3, v3, v4
	ds_read2_b32 v[8:9], v87 offset0:102 offset1:153
	v_fma_f16 v27, v53, v69, -v27
	v_mul_f16_sdwa v53, v59, v79 dst_sel:DWORD dst_unused:UNUSED_PAD src0_sel:WORD_1 src1_sel:DWORD
	v_add_f16_e32 v56, v56, v36
	v_add_f16_e32 v57, v57, v4
	v_fma_f16 v3, v3, -0.5, v35
	v_sub_f16_e32 v4, v81, v36
	v_add_f16_e32 v36, v37, v39
	v_lshrrev_b32_e32 v38, 16, v1
	v_lshrrev_b32_e32 v61, 16, v10
	v_fma_f16 v53, v59, v34, v53
	v_mul_f16_sdwa v34, v59, v34 dst_sel:DWORD dst_unused:UNUSED_PAD src0_sel:WORD_1 src1_sel:DWORD
	v_fma_f16 v35, v4, s1, v3
	v_fma_f16 v3, v4, s0, v3
	v_add_f16_e32 v4, v1, v37
	v_fma_f16 v1, v36, -0.5, v1
	v_sub_f16_e32 v36, v6, v5
	v_mul_f16_sdwa v42, v48, v61 dst_sel:DWORD dst_unused:UNUSED_PAD src0_sel:WORD_1 src1_sel:DWORD
	v_fma_f16 v34, v59, v79, -v34
	v_fma_f16 v59, v36, s0, v1
	v_fma_f16 v1, v36, s1, v1
	v_add_f16_e32 v36, v38, v6
	v_fma_f16 v42, v48, v10, v42
	v_mul_f16_sdwa v10, v48, v10 dst_sel:DWORD dst_unused:UNUSED_PAD src0_sel:WORD_1 src1_sel:DWORD
	v_add_f16_e32 v36, v36, v5
	v_add_f16_e32 v5, v6, v5
	v_lshrrev_b32_e32 v63, 16, v12
	v_fma_f16 v10, v48, v61, -v10
	v_fma_f16 v5, v5, -0.5, v38
	v_sub_f16_e32 v6, v37, v39
	v_add_f16_e32 v38, v40, v42
	s_waitcnt lgkmcnt(0)
	v_lshrrev_b32_e32 v41, 16, v8
	v_mul_f16_sdwa v43, v49, v63 dst_sel:DWORD dst_unused:UNUSED_PAD src0_sel:WORD_1 src1_sel:DWORD
	v_fma_f16 v37, v6, s1, v5
	v_fma_f16 v5, v6, s0, v5
	v_add_f16_e32 v6, v8, v40
	v_fma_f16 v8, v38, -0.5, v8
	v_sub_f16_e32 v38, v7, v10
	ds_read_b32 v75, v87 offset:5304
	v_fma_f16 v43, v49, v12, v43
	v_mul_f16_sdwa v12, v49, v12 dst_sel:DWORD dst_unused:UNUSED_PAD src0_sel:WORD_1 src1_sel:DWORD
	v_add_f16_e32 v4, v4, v39
	v_fma_f16 v39, v38, s0, v8
	v_fma_f16 v8, v38, s1, v8
	v_add_f16_e32 v38, v41, v7
	v_add_f16_e32 v7, v7, v10
	ds_read2_b32 v[14:15], v87 offset0:204 offset1:255
	v_fma_f16 v12, v49, v63, -v12
	v_add_f16_e32 v38, v38, v10
	v_fma_f16 v7, v7, -0.5, v41
	v_sub_f16_e32 v10, v40, v42
	v_add_f16_e32 v41, v43, v44
	v_lshrrev_b32_e32 v62, 16, v9
	v_fma_f16 v40, v10, s1, v7
	v_fma_f16 v7, v10, s0, v7
	v_add_f16_e32 v10, v9, v43
	v_fma_f16 v9, v41, -0.5, v9
	v_sub_f16_e32 v41, v12, v11
	v_lshrrev_b32_e32 v70, 16, v26
	v_lshrrev_b32_e32 v72, 16, v28
	v_add_f16_e32 v6, v6, v42
	v_fma_f16 v42, v41, s0, v9
	v_fma_f16 v9, v41, s1, v9
	v_add_f16_e32 v41, v62, v12
	v_mul_f16_sdwa v48, v54, v70 dst_sel:DWORD dst_unused:UNUSED_PAD src0_sel:WORD_1 src1_sel:DWORD
	v_mul_f16_sdwa v49, v55, v72 dst_sel:DWORD dst_unused:UNUSED_PAD src0_sel:WORD_1 src1_sel:DWORD
	v_add_f16_e32 v41, v41, v11
	v_add_f16_e32 v11, v12, v11
	s_waitcnt lgkmcnt(1)
	v_lshrrev_b32_e32 v80, 16, v75
	v_fma_f16 v48, v54, v26, v48
	v_mul_f16_sdwa v26, v54, v26 dst_sel:DWORD dst_unused:UNUSED_PAD src0_sel:WORD_1 src1_sel:DWORD
	v_fma_f16 v49, v55, v28, v49
	v_mul_f16_sdwa v28, v55, v28 dst_sel:DWORD dst_unused:UNUSED_PAD src0_sel:WORD_1 src1_sel:DWORD
	v_add_f16_e32 v10, v10, v44
	v_fma_f16 v11, v11, -0.5, v62
	v_sub_f16_e32 v12, v43, v44
	v_add_f16_e32 v44, v45, v46
	s_waitcnt lgkmcnt(0)
	v_lshrrev_b32_e32 v65, 16, v14
	v_fma_f16 v26, v54, v70, -v26
	v_fma_f16 v28, v55, v72, -v28
	v_mul_f16_sdwa v54, v60, v80 dst_sel:DWORD dst_unused:UNUSED_PAD src0_sel:WORD_1 src1_sel:DWORD
	v_mul_f16_sdwa v55, v60, v75 dst_sel:DWORD dst_unused:UNUSED_PAD src0_sel:WORD_1 src1_sel:DWORD
	v_fma_f16 v43, v12, s1, v11
	v_fma_f16 v11, v12, s0, v11
	v_add_f16_e32 v12, v14, v45
	v_fma_f16 v14, v44, -0.5, v14
	v_sub_f16_e32 v44, v13, v25
	v_fma_f16 v54, v60, v75, v54
	v_fma_f16 v55, v60, v80, -v55
	v_fma_f16 v60, v44, s0, v14
	v_fma_f16 v14, v44, s1, v14
	v_add_f16_e32 v44, v65, v13
	v_add_f16_e32 v13, v13, v25
	ds_read2_b32 v[29:30], v23 offset0:50 offset1:101
	v_add_f16_e32 v12, v12, v46
	v_add_f16_e32 v44, v44, v25
	v_fma_f16 v13, v13, -0.5, v65
	v_sub_f16_e32 v25, v45, v46
	v_add_f16_e32 v46, v47, v48
	v_lshrrev_b32_e32 v68, 16, v15
	v_fma_f16 v45, v25, s1, v13
	v_fma_f16 v13, v25, s0, v13
	v_add_f16_e32 v25, v15, v47
	v_fma_f16 v15, v46, -0.5, v15
	v_sub_f16_e32 v46, v27, v26
	v_fma_f16 v61, v46, s0, v15
	v_fma_f16 v15, v46, s1, v15
	v_add_f16_e32 v46, v68, v27
	v_add_f16_e32 v46, v46, v26
	;; [unrolled: 1-line block ×4, first 2 shown]
	v_fma_f16 v26, v26, -0.5, v68
	v_sub_f16_e32 v27, v47, v48
	v_add_f16_e32 v48, v49, v50
	s_waitcnt lgkmcnt(0)
	v_lshrrev_b32_e32 v71, 16, v29
	v_fma_f16 v47, v27, s1, v26
	v_fma_f16 v26, v27, s0, v26
	v_add_f16_e32 v27, v29, v49
	v_fma_f16 v29, v48, -0.5, v29
	v_sub_f16_e32 v48, v28, v31
	v_fma_f16 v62, v48, s0, v29
	v_fma_f16 v29, v48, s1, v29
	v_add_f16_e32 v48, v71, v28
	v_add_f16_e32 v28, v28, v31
	;; [unrolled: 1-line block ×4, first 2 shown]
	v_fma_f16 v28, v28, -0.5, v71
	v_sub_f16_e32 v31, v49, v50
	v_add_f16_e32 v50, v51, v52
	v_lshrrev_b32_e32 v74, 16, v30
	v_fma_f16 v49, v31, s1, v28
	v_fma_f16 v28, v31, s0, v28
	v_add_f16_e32 v31, v30, v51
	v_fma_f16 v30, v50, -0.5, v30
	v_sub_f16_e32 v50, v33, v32
	v_fma_f16 v63, v50, s0, v30
	v_fma_f16 v30, v50, s1, v30
	v_add_f16_e32 v50, v74, v33
	v_add_f16_e32 v50, v50, v32
	;; [unrolled: 1-line block ×4, first 2 shown]
	v_fma_f16 v32, v32, -0.5, v74
	v_sub_f16_e32 v33, v51, v52
	v_add_f16_e32 v52, v53, v54
	v_lshrrev_b32_e32 v78, 16, v2
	v_fma_f16 v51, v33, s1, v32
	v_fma_f16 v32, v33, s0, v32
	v_add_f16_e32 v33, v2, v53
	v_fma_f16 v2, v52, -0.5, v2
	v_sub_f16_e32 v52, v34, v55
	v_fma_f16 v64, v52, s0, v2
	v_fma_f16 v2, v52, s1, v2
	v_add_f16_e32 v52, v78, v34
	v_add_f16_e32 v34, v34, v55
	v_fma_f16 v34, v34, -0.5, v78
	v_sub_f16_e32 v53, v53, v54
	v_add_f16_e32 v33, v33, v54
	v_fma_f16 v54, v53, s1, v34
	v_fma_f16 v34, v53, s0, v34
	v_pack_b32_f16 v53, v56, v57
	v_pack_b32_f16 v0, v0, v3
	;; [unrolled: 1-line block ×4, first 2 shown]
	ds_write2_b32 v87, v53, v3 offset1:51
	v_pack_b32_f16 v3, v59, v37
	ds_write2_b32 v21, v0, v1 offset0:150 offset1:201
	v_pack_b32_f16 v1, v39, v40
	v_pack_b32_f16 v0, v6, v38
	ds_write2_b32 v24, v3, v1 offset0:126 offset1:177
	v_pack_b32_f16 v3, v10, v41
	;; [unrolled: 3-line block ×8, first 2 shown]
	v_add_f16_e32 v52, v52, v55
	v_pack_b32_f16 v1, v29, v28
	ds_write2_b32 v23, v0, v3 offset0:50 offset1:101
	v_pack_b32_f16 v3, v30, v32
	v_pack_b32_f16 v35, v58, v35
	ds_write2_b32 v19, v1, v3 offset0:200 offset1:251
	v_pack_b32_f16 v1, v33, v52
	v_pack_b32_f16 v0, v63, v51
	ds_write2_b32 v23, v1, v35 offset0:152 offset1:203
	v_pack_b32_f16 v1, v64, v54
	ds_write2_b32 v21, v0, v1 offset0:48 offset1:99
	v_pack_b32_f16 v0, v2, v34
	ds_write_b32 v87, v0 offset:5304
	s_waitcnt lgkmcnt(0)
	; wave barrier
	s_waitcnt lgkmcnt(0)
	ds_read2_b32 v[0:1], v87 offset1:81
	buffer_load_dword v3, off, s[52:55], 0  ; 4-byte Folded Reload
	buffer_load_dword v4, off, s[52:55], 0 offset:4 ; 4-byte Folded Reload
	s_mov_b32 s12, 0xdee863a6
	s_mov_b32 s13, 0x3f47cbf1
	s_movk_i32 s15, 0x1ff
	s_waitcnt lgkmcnt(0)
	v_lshrrev_b32_e32 v9, 16, v0
	v_mul_f16_sdwa v2, v105, v9 dst_sel:DWORD dst_unused:UNUSED_PAD src0_sel:WORD_1 src1_sel:DWORD
	v_fma_f16 v2, v105, v0, v2
	v_cvt_f32_f16_e32 v2, v2
	v_mul_f16_sdwa v0, v105, v0 dst_sel:DWORD dst_unused:UNUSED_PAD src0_sel:WORD_1 src1_sel:DWORD
	v_fma_f16 v0, v105, v9, -v0
	v_cvt_f32_f16_e32 v0, v0
	v_cvt_f64_f32_e32 v[5:6], v2
	s_mov_b32 s14, 0x8000
	buffer_load_dword v14, off, s[52:55], 0 offset:40 ; 4-byte Folded Reload
	s_movk_i32 s16, 0x1000
	v_mul_f64 v[5:6], v[5:6], s[12:13]
	s_waitcnt vmcnt(2)
	v_mov_b32_e32 v7, v3
	s_waitcnt vmcnt(1)
	v_mad_u64_u32 v[3:4], s[0:1], s10, v7, 0
	s_movk_i32 s10, 0xffe
	v_mov_b32_e32 v2, v4
	v_mad_u64_u32 v[7:8], s[0:1], s11, v7, v[2:3]
	v_and_or_b32 v2, v6, s15, v5
	v_cmp_ne_u32_e64 s[0:1], 0, v2
	v_mov_b32_e32 v4, v7
	v_cndmask_b32_e64 v2, 0, 1, s[0:1]
	v_lshrrev_b32_e32 v5, 8, v6
	v_bfe_u32 v7, v6, 20, 11
	v_and_or_b32 v5, v5, s10, v2
	v_sub_u32_e32 v8, 0x3f1, v7
	v_or_b32_e32 v2, 0x1000, v5
	v_med3_i32 v8, v8, 0, 13
	v_lshrrev_b32_e32 v10, v8, v2
	v_lshlrev_b32_e32 v8, v8, v10
	v_cmp_ne_u32_e64 s[0:1], v8, v2
	v_cndmask_b32_e64 v2, 0, 1, s[0:1]
	v_or_b32_e32 v2, v10, v2
	v_add_u32_e32 v10, 0xfffffc10, v7
	v_lshl_or_b32 v7, v10, 12, v5
	v_cmp_gt_i32_e64 s[0:1], 1, v10
	v_cndmask_b32_e64 v2, v7, v2, s[0:1]
	v_and_b32_e32 v7, 7, v2
	v_cmp_lt_i32_e64 s[0:1], 5, v7
	v_cmp_eq_u32_e64 s[2:3], 3, v7
	v_cvt_f64_f32_e32 v[7:8], v0
	v_lshrrev_b32_e32 v2, 2, v2
	s_or_b64 s[0:1], s[2:3], s[0:1]
	v_addc_co_u32_e64 v9, s[0:1], 0, v2, s[0:1]
	v_mul_f64 v[7:8], v[7:8], s[12:13]
	v_mov_b32_e32 v2, 0x7c00
	v_cmp_gt_i32_e64 s[0:1], 31, v10
	v_cndmask_b32_e64 v0, v2, v9, s[0:1]
	v_cmp_ne_u32_e64 s[0:1], 0, v5
	v_cndmask_b32_e64 v5, 0, 1, s[0:1]
	s_movk_i32 s11, 0x40f
	v_lshl_or_b32 v5, v5, 9, v2
	v_cmp_eq_u32_e64 s[0:1], s11, v10
	v_cndmask_b32_e64 v0, v0, v5, s[0:1]
	v_lshrrev_b32_e32 v5, 16, v6
	v_and_or_b32 v9, v5, s14, v0
	v_and_or_b32 v0, v8, s15, v7
	v_cmp_ne_u32_e64 s[0:1], 0, v0
	v_cndmask_b32_e64 v0, 0, 1, s[0:1]
	v_lshrrev_b32_e32 v5, 8, v8
	v_bfe_u32 v6, v8, 20, 11
	v_and_or_b32 v0, v5, s10, v0
	v_sub_u32_e32 v7, 0x3f1, v6
	v_or_b32_e32 v5, 0x1000, v0
	v_med3_i32 v7, v7, 0, 13
	v_lshrrev_b32_e32 v10, v7, v5
	v_lshlrev_b32_e32 v7, v7, v10
	v_cmp_ne_u32_e64 s[0:1], v7, v5
	v_cndmask_b32_e64 v5, 0, 1, s[0:1]
	v_add_u32_e32 v7, 0xfffffc10, v6
	v_or_b32_e32 v5, v10, v5
	v_lshl_or_b32 v6, v7, 12, v0
	v_cmp_gt_i32_e64 s[0:1], 1, v7
	v_cndmask_b32_e64 v5, v6, v5, s[0:1]
	v_and_b32_e32 v6, 7, v5
	v_cmp_lt_i32_e64 s[0:1], 5, v6
	v_cmp_eq_u32_e64 s[2:3], 3, v6
	v_lshrrev_b32_e32 v5, 2, v5
	s_or_b64 s[0:1], s[2:3], s[0:1]
	v_addc_co_u32_e64 v5, s[0:1], 0, v5, s[0:1]
	v_cmp_gt_i32_e64 s[0:1], 31, v7
	v_cndmask_b32_e64 v10, v2, v5, s[0:1]
	v_cmp_ne_u32_e64 s[0:1], 0, v0
	v_cndmask_b32_e64 v0, 0, 1, s[0:1]
	v_mad_u64_u32 v[5:6], s[0:1], s8, v104, 0
	v_lshl_or_b32 v0, v0, 9, v2
	v_cmp_eq_u32_e64 s[0:1], s11, v7
	v_cndmask_b32_e64 v10, v10, v0, s[0:1]
	v_mov_b32_e32 v0, v6
	v_mad_u64_u32 v[6:7], s[0:1], s9, v104, v[0:1]
	v_lshrrev_b32_e32 v0, 16, v1
	v_mul_f16_sdwa v7, v103, v0 dst_sel:DWORD dst_unused:UNUSED_PAD src0_sel:WORD_1 src1_sel:DWORD
	v_fma_f16 v7, v103, v1, v7
	v_cvt_f32_f16_e32 v7, v7
	v_lshrrev_b32_e32 v8, 16, v8
	v_and_or_b32 v10, v8, s14, v10
	v_lshlrev_b64 v[3:4], 2, v[3:4]
	v_cvt_f64_f32_e32 v[7:8], v7
	v_and_b32_e32 v9, 0xffff, v9
	v_lshl_or_b32 v9, v10, 16, v9
	v_mov_b32_e32 v10, s7
	v_mul_f64 v[7:8], v[7:8], s[12:13]
	v_add_co_u32_e64 v11, s[0:1], s6, v3
	v_addc_co_u32_e64 v10, s[0:1], v10, v4, s[0:1]
	v_lshlrev_b64 v[3:4], 2, v[5:6]
	v_mul_f16_sdwa v1, v103, v1 dst_sel:DWORD dst_unused:UNUSED_PAD src0_sel:WORD_1 src1_sel:DWORD
	v_add_co_u32_e64 v3, s[0:1], v11, v3
	v_addc_co_u32_e64 v4, s[0:1], v10, v4, s[0:1]
	v_and_or_b32 v5, v8, s15, v7
	v_cmp_ne_u32_e64 s[0:1], 0, v5
	v_fma_f16 v0, v103, v0, -v1
	v_cndmask_b32_e64 v5, 0, 1, s[0:1]
	v_lshrrev_b32_e32 v6, 8, v8
	v_bfe_u32 v7, v8, 20, 11
	v_cvt_f32_f16_e32 v0, v0
	global_store_dword v[3:4], v9, off
	v_and_or_b32 v5, v6, s10, v5
	v_sub_u32_e32 v9, 0x3f1, v7
	v_or_b32_e32 v6, 0x1000, v5
	v_med3_i32 v9, v9, 0, 13
	v_lshrrev_b32_e32 v10, v9, v6
	v_lshlrev_b32_e32 v9, v9, v10
	v_cvt_f64_f32_e32 v[0:1], v0
	v_cmp_ne_u32_e64 s[0:1], v9, v6
	v_cndmask_b32_e64 v6, 0, 1, s[0:1]
	v_add_u32_e32 v7, 0xfffffc10, v7
	v_or_b32_e32 v6, v10, v6
	v_lshl_or_b32 v9, v7, 12, v5
	v_cmp_gt_i32_e64 s[0:1], 1, v7
	v_cndmask_b32_e64 v6, v9, v6, s[0:1]
	v_mul_f64 v[0:1], v[0:1], s[12:13]
	v_and_b32_e32 v9, 7, v6
	v_cmp_lt_i32_e64 s[0:1], 5, v9
	v_cmp_eq_u32_e64 s[2:3], 3, v9
	v_lshrrev_b32_e32 v6, 2, v6
	s_or_b64 s[0:1], s[2:3], s[0:1]
	v_addc_co_u32_e64 v6, s[0:1], 0, v6, s[0:1]
	v_cmp_gt_i32_e64 s[0:1], 31, v7
	v_cndmask_b32_e64 v6, v2, v6, s[0:1]
	v_cmp_ne_u32_e64 s[0:1], 0, v5
	v_cndmask_b32_e64 v5, 0, 1, s[0:1]
	v_lshl_or_b32 v5, v5, 9, v2
	v_cmp_eq_u32_e64 s[0:1], s11, v7
	v_and_or_b32 v0, v1, s15, v0
	v_cndmask_b32_e64 v5, v6, v5, s[0:1]
	v_lshrrev_b32_e32 v6, 16, v8
	v_cmp_ne_u32_e64 s[0:1], 0, v0
	v_and_or_b32 v7, v6, s14, v5
	v_cndmask_b32_e64 v0, 0, 1, s[0:1]
	v_lshrrev_b32_e32 v5, 8, v1
	v_bfe_u32 v6, v1, 20, 11
	v_and_or_b32 v0, v5, s10, v0
	v_sub_u32_e32 v8, 0x3f1, v6
	v_or_b32_e32 v5, 0x1000, v0
	v_med3_i32 v8, v8, 0, 13
	v_lshrrev_b32_e32 v9, v8, v5
	v_lshlrev_b32_e32 v8, v8, v9
	v_cmp_ne_u32_e64 s[0:1], v8, v5
	v_cndmask_b32_e64 v5, 0, 1, s[0:1]
	v_add_u32_e32 v8, 0xfffffc10, v6
	v_or_b32_e32 v5, v9, v5
	v_lshl_or_b32 v6, v8, 12, v0
	v_cmp_gt_i32_e64 s[0:1], 1, v8
	v_cndmask_b32_e64 v5, v6, v5, s[0:1]
	v_and_b32_e32 v6, 7, v5
	v_cmp_lt_i32_e64 s[0:1], 5, v6
	v_cmp_eq_u32_e64 s[2:3], 3, v6
	v_lshrrev_b32_e32 v5, 2, v5
	s_or_b64 s[0:1], s[2:3], s[0:1]
	v_addc_co_u32_e64 v5, s[0:1], 0, v5, s[0:1]
	v_cmp_gt_i32_e64 s[0:1], 31, v8
	v_cndmask_b32_e64 v9, v2, v5, s[0:1]
	ds_read2_b32 v[5:6], v87 offset0:162 offset1:243
	v_cmp_ne_u32_e64 s[0:1], 0, v0
	v_cndmask_b32_e64 v0, 0, 1, s[0:1]
	v_lshl_or_b32 v0, v0, 9, v2
	v_cmp_eq_u32_e64 s[0:1], s11, v8
	v_cndmask_b32_e64 v0, v9, v0, s[0:1]
	v_lshrrev_b32_e32 v1, 16, v1
	s_waitcnt lgkmcnt(0)
	v_lshrrev_b32_e32 v9, 16, v5
	v_and_or_b32 v8, v1, s14, v0
	v_mul_f16_sdwa v0, v102, v9 dst_sel:DWORD dst_unused:UNUSED_PAD src0_sel:WORD_1 src1_sel:DWORD
	v_fma_f16 v0, v102, v5, v0
	v_cvt_f32_f16_e32 v0, v0
	v_and_b32_e32 v7, 0xffff, v7
	v_lshl_or_b32 v10, v8, 16, v7
	s_mul_i32 s0, s9, 0x51
	v_cvt_f64_f32_e32 v[0:1], v0
	s_mul_hi_u32 s1, s8, 0x51
	s_add_i32 s1, s1, s0
	s_mul_i32 s0, s8, 0x51
	v_mul_f64 v[7:8], v[0:1], s[12:13]
	s_lshl_b64 s[6:7], s[0:1], 2
	v_mov_b32_e32 v1, s7
	v_add_co_u32_e64 v3, s[0:1], s6, v3
	v_addc_co_u32_e64 v4, s[0:1], v4, v1, s[0:1]
	global_store_dword v[3:4], v10, off
	v_and_or_b32 v0, v8, s15, v7
	v_cmp_ne_u32_e64 s[0:1], 0, v0
	v_cndmask_b32_e64 v0, 0, 1, s[0:1]
	v_lshrrev_b32_e32 v7, 8, v8
	v_bfe_u32 v10, v8, 20, 11
	v_and_or_b32 v0, v7, s10, v0
	v_sub_u32_e32 v11, 0x3f1, v10
	v_or_b32_e32 v7, 0x1000, v0
	v_med3_i32 v11, v11, 0, 13
	v_lshrrev_b32_e32 v12, v11, v7
	v_lshlrev_b32_e32 v11, v11, v12
	v_mul_f16_sdwa v5, v102, v5 dst_sel:DWORD dst_unused:UNUSED_PAD src0_sel:WORD_1 src1_sel:DWORD
	v_cmp_ne_u32_e64 s[0:1], v11, v7
	v_fma_f16 v5, v102, v9, -v5
	v_cndmask_b32_e64 v7, 0, 1, s[0:1]
	v_add_u32_e32 v11, 0xfffffc10, v10
	v_cvt_f32_f16_e32 v5, v5
	v_or_b32_e32 v7, v12, v7
	v_lshl_or_b32 v10, v11, 12, v0
	v_cmp_gt_i32_e64 s[0:1], 1, v11
	v_cndmask_b32_e64 v7, v10, v7, s[0:1]
	v_and_b32_e32 v10, 7, v7
	v_cmp_lt_i32_e64 s[0:1], 5, v10
	v_cmp_eq_u32_e64 s[2:3], 3, v10
	v_cvt_f64_f32_e32 v[9:10], v5
	v_lshrrev_b32_e32 v7, 2, v7
	s_or_b64 s[0:1], s[2:3], s[0:1]
	v_addc_co_u32_e64 v5, s[0:1], 0, v7, s[0:1]
	v_mul_f64 v[9:10], v[9:10], s[12:13]
	v_cmp_gt_i32_e64 s[0:1], 31, v11
	v_cndmask_b32_e64 v5, v2, v5, s[0:1]
	v_cmp_ne_u32_e64 s[0:1], 0, v0
	v_cndmask_b32_e64 v0, 0, 1, s[0:1]
	v_lshl_or_b32 v0, v0, 9, v2
	v_cmp_eq_u32_e64 s[0:1], s11, v11
	v_cndmask_b32_e64 v0, v5, v0, s[0:1]
	v_lshrrev_b32_e32 v5, 16, v8
	v_and_or_b32 v0, v5, s14, v0
	v_and_or_b32 v5, v10, s15, v9
	v_cmp_ne_u32_e64 s[0:1], 0, v5
	v_cndmask_b32_e64 v5, 0, 1, s[0:1]
	v_lshrrev_b32_e32 v7, 8, v10
	v_bfe_u32 v8, v10, 20, 11
	v_and_or_b32 v5, v7, s10, v5
	v_sub_u32_e32 v9, 0x3f1, v8
	v_or_b32_e32 v7, 0x1000, v5
	v_med3_i32 v9, v9, 0, 13
	v_lshrrev_b32_e32 v11, v9, v7
	v_lshlrev_b32_e32 v9, v9, v11
	v_cmp_ne_u32_e64 s[0:1], v9, v7
	v_cndmask_b32_e64 v7, 0, 1, s[0:1]
	v_add_u32_e32 v9, 0xfffffc10, v8
	v_or_b32_e32 v7, v11, v7
	v_lshl_or_b32 v8, v9, 12, v5
	v_cmp_gt_i32_e64 s[0:1], 1, v9
	v_cndmask_b32_e64 v7, v8, v7, s[0:1]
	v_and_b32_e32 v8, 7, v7
	v_cmp_lt_i32_e64 s[0:1], 5, v8
	v_cmp_eq_u32_e64 s[2:3], 3, v8
	v_lshrrev_b32_e32 v7, 2, v7
	s_or_b64 s[0:1], s[2:3], s[0:1]
	v_addc_co_u32_e64 v7, s[0:1], 0, v7, s[0:1]
	v_cmp_gt_i32_e64 s[0:1], 31, v9
	v_lshrrev_b32_e32 v12, 16, v6
	v_cndmask_b32_e64 v11, v2, v7, s[0:1]
	v_mul_f16_sdwa v7, v101, v12 dst_sel:DWORD dst_unused:UNUSED_PAD src0_sel:WORD_1 src1_sel:DWORD
	v_fma_f16 v7, v101, v6, v7
	v_cvt_f32_f16_e32 v7, v7
	v_cmp_ne_u32_e64 s[0:1], 0, v5
	v_cndmask_b32_e64 v5, 0, 1, s[0:1]
	v_lshl_or_b32 v5, v5, 9, v2
	v_cvt_f64_f32_e32 v[7:8], v7
	v_cmp_eq_u32_e64 s[0:1], s11, v9
	v_cndmask_b32_e64 v5, v11, v5, s[0:1]
	v_lshrrev_b32_e32 v9, 16, v10
	v_mul_f64 v[7:8], v[7:8], s[12:13]
	v_and_or_b32 v5, v9, s14, v5
	v_and_b32_e32 v0, 0xffff, v0
	v_add_co_u32_e64 v3, s[0:1], s6, v3
	v_lshl_or_b32 v0, v5, 16, v0
	v_addc_co_u32_e64 v4, s[0:1], v4, v1, s[0:1]
	global_store_dword v[3:4], v0, off
	v_and_or_b32 v0, v8, s15, v7
	v_cmp_ne_u32_e64 s[0:1], 0, v0
	v_cndmask_b32_e64 v0, 0, 1, s[0:1]
	v_lshrrev_b32_e32 v5, 8, v8
	v_bfe_u32 v7, v8, 20, 11
	v_and_or_b32 v0, v5, s10, v0
	v_sub_u32_e32 v9, 0x3f1, v7
	v_or_b32_e32 v5, 0x1000, v0
	v_med3_i32 v9, v9, 0, 13
	v_lshrrev_b32_e32 v10, v9, v5
	v_lshlrev_b32_e32 v9, v9, v10
	v_mul_f16_sdwa v6, v101, v6 dst_sel:DWORD dst_unused:UNUSED_PAD src0_sel:WORD_1 src1_sel:DWORD
	v_cmp_ne_u32_e64 s[0:1], v9, v5
	v_fma_f16 v6, v101, v12, -v6
	v_cndmask_b32_e64 v5, 0, 1, s[0:1]
	v_add_u32_e32 v7, 0xfffffc10, v7
	v_cvt_f32_f16_e32 v6, v6
	v_or_b32_e32 v5, v10, v5
	v_lshl_or_b32 v9, v7, 12, v0
	v_cmp_gt_i32_e64 s[0:1], 1, v7
	v_cndmask_b32_e64 v5, v9, v5, s[0:1]
	v_and_b32_e32 v9, 7, v5
	v_cmp_lt_i32_e64 s[0:1], 5, v9
	v_cmp_eq_u32_e64 s[2:3], 3, v9
	v_lshrrev_b32_e32 v9, 2, v5
	v_cvt_f64_f32_e32 v[5:6], v6
	s_or_b64 s[0:1], s[2:3], s[0:1]
	v_addc_co_u32_e64 v9, s[0:1], 0, v9, s[0:1]
	v_mul_f64 v[5:6], v[5:6], s[12:13]
	v_cmp_gt_i32_e64 s[0:1], 31, v7
	v_cndmask_b32_e64 v9, v2, v9, s[0:1]
	v_cmp_ne_u32_e64 s[0:1], 0, v0
	v_cndmask_b32_e64 v0, 0, 1, s[0:1]
	v_lshl_or_b32 v0, v0, 9, v2
	v_cmp_eq_u32_e64 s[0:1], s11, v7
	v_cndmask_b32_e64 v0, v9, v0, s[0:1]
	v_and_or_b32 v5, v6, s15, v5
	v_lshrrev_b32_e32 v7, 16, v8
	v_cmp_ne_u32_e64 s[0:1], 0, v5
	v_and_or_b32 v0, v7, s14, v0
	v_cndmask_b32_e64 v5, 0, 1, s[0:1]
	v_lshrrev_b32_e32 v7, 8, v6
	v_bfe_u32 v8, v6, 20, 11
	v_and_or_b32 v5, v7, s10, v5
	v_sub_u32_e32 v9, 0x3f1, v8
	v_or_b32_e32 v7, 0x1000, v5
	v_med3_i32 v9, v9, 0, 13
	v_lshrrev_b32_e32 v10, v9, v7
	v_lshlrev_b32_e32 v9, v9, v10
	v_cmp_ne_u32_e64 s[0:1], v9, v7
	v_cndmask_b32_e64 v7, 0, 1, s[0:1]
	v_add_u32_e32 v11, 0xfffffc10, v8
	v_or_b32_e32 v7, v10, v7
	v_lshl_or_b32 v8, v11, 12, v5
	v_cmp_gt_i32_e64 s[0:1], 1, v11
	v_cndmask_b32_e64 v7, v8, v7, s[0:1]
	v_and_b32_e32 v8, 7, v7
	v_cmp_lt_i32_e64 s[0:1], 5, v8
	v_cmp_eq_u32_e64 s[2:3], 3, v8
	v_lshrrev_b32_e32 v9, 2, v7
	ds_read2_b32 v[7:8], v23 offset0:68 offset1:149
	s_or_b64 s[0:1], s[2:3], s[0:1]
	v_addc_co_u32_e64 v9, s[0:1], 0, v9, s[0:1]
	v_cmp_gt_i32_e64 s[0:1], 31, v11
	s_waitcnt lgkmcnt(0)
	v_lshrrev_b32_e32 v13, 16, v7
	v_cndmask_b32_e64 v12, v2, v9, s[0:1]
	v_mul_f16_sdwa v9, v100, v13 dst_sel:DWORD dst_unused:UNUSED_PAD src0_sel:WORD_1 src1_sel:DWORD
	v_fma_f16 v9, v100, v7, v9
	v_cvt_f32_f16_e32 v9, v9
	v_cmp_ne_u32_e64 s[0:1], 0, v5
	v_cndmask_b32_e64 v5, 0, 1, s[0:1]
	v_lshl_or_b32 v5, v5, 9, v2
	v_cvt_f64_f32_e32 v[9:10], v9
	v_cmp_eq_u32_e64 s[0:1], s11, v11
	v_cndmask_b32_e64 v5, v12, v5, s[0:1]
	v_lshrrev_b32_e32 v6, 16, v6
	v_and_or_b32 v11, v6, s14, v5
	v_mul_f64 v[5:6], v[9:10], s[12:13]
	v_and_b32_e32 v0, 0xffff, v0
	v_add_co_u32_e64 v3, s[0:1], s6, v3
	v_lshl_or_b32 v0, v11, 16, v0
	v_addc_co_u32_e64 v4, s[0:1], v4, v1, s[0:1]
	global_store_dword v[3:4], v0, off
	v_and_or_b32 v0, v6, s15, v5
	v_cmp_ne_u32_e64 s[0:1], 0, v0
	v_cndmask_b32_e64 v0, 0, 1, s[0:1]
	v_lshrrev_b32_e32 v5, 8, v6
	v_bfe_u32 v9, v6, 20, 11
	v_and_or_b32 v0, v5, s10, v0
	v_sub_u32_e32 v10, 0x3f1, v9
	v_or_b32_e32 v5, 0x1000, v0
	v_med3_i32 v10, v10, 0, 13
	v_lshrrev_b32_e32 v11, v10, v5
	v_lshlrev_b32_e32 v10, v10, v11
	v_cmp_ne_u32_e64 s[0:1], v10, v5
	v_mul_f16_sdwa v7, v100, v7 dst_sel:DWORD dst_unused:UNUSED_PAD src0_sel:WORD_1 src1_sel:DWORD
	v_cndmask_b32_e64 v5, 0, 1, s[0:1]
	v_fma_f16 v7, v100, v13, -v7
	v_or_b32_e32 v5, v11, v5
	v_add_u32_e32 v11, 0xfffffc10, v9
	v_cvt_f32_f16_e32 v7, v7
	v_lshl_or_b32 v9, v11, 12, v0
	v_cmp_gt_i32_e64 s[0:1], 1, v11
	v_cndmask_b32_e64 v5, v9, v5, s[0:1]
	v_and_b32_e32 v9, 7, v5
	v_cmp_lt_i32_e64 s[0:1], 5, v9
	v_cmp_eq_u32_e64 s[2:3], 3, v9
	v_cvt_f64_f32_e32 v[9:10], v7
	v_lshrrev_b32_e32 v5, 2, v5
	s_or_b64 s[0:1], s[2:3], s[0:1]
	v_addc_co_u32_e64 v5, s[0:1], 0, v5, s[0:1]
	v_mul_f64 v[9:10], v[9:10], s[12:13]
	v_cmp_gt_i32_e64 s[0:1], 31, v11
	v_cndmask_b32_e64 v5, v2, v5, s[0:1]
	v_cmp_ne_u32_e64 s[0:1], 0, v0
	v_cndmask_b32_e64 v0, 0, 1, s[0:1]
	v_lshl_or_b32 v0, v0, 9, v2
	v_cmp_eq_u32_e64 s[0:1], s11, v11
	v_cndmask_b32_e64 v0, v5, v0, s[0:1]
	v_lshrrev_b32_e32 v5, 16, v6
	v_and_or_b32 v0, v5, s14, v0
	v_and_or_b32 v5, v10, s15, v9
	v_cmp_ne_u32_e64 s[0:1], 0, v5
	v_cndmask_b32_e64 v5, 0, 1, s[0:1]
	v_lshrrev_b32_e32 v6, 8, v10
	v_bfe_u32 v7, v10, 20, 11
	v_and_or_b32 v5, v6, s10, v5
	v_sub_u32_e32 v9, 0x3f1, v7
	v_or_b32_e32 v6, 0x1000, v5
	v_med3_i32 v9, v9, 0, 13
	v_lshrrev_b32_e32 v11, v9, v6
	v_lshlrev_b32_e32 v9, v9, v11
	v_cmp_ne_u32_e64 s[0:1], v9, v6
	v_cndmask_b32_e64 v6, 0, 1, s[0:1]
	v_add_u32_e32 v7, 0xfffffc10, v7
	v_or_b32_e32 v6, v11, v6
	v_lshl_or_b32 v9, v7, 12, v5
	v_cmp_gt_i32_e64 s[0:1], 1, v7
	v_cndmask_b32_e64 v6, v9, v6, s[0:1]
	v_and_b32_e32 v9, 7, v6
	v_cmp_lt_i32_e64 s[0:1], 5, v9
	v_cmp_eq_u32_e64 s[2:3], 3, v9
	v_lshrrev_b32_e32 v6, 2, v6
	s_or_b64 s[0:1], s[2:3], s[0:1]
	v_addc_co_u32_e64 v6, s[0:1], 0, v6, s[0:1]
	v_cmp_gt_i32_e64 s[0:1], 31, v7
	v_lshrrev_b32_e32 v11, 16, v8
	v_cndmask_b32_e64 v9, v2, v6, s[0:1]
	v_mul_f16_sdwa v6, v99, v11 dst_sel:DWORD dst_unused:UNUSED_PAD src0_sel:WORD_1 src1_sel:DWORD
	v_fma_f16 v6, v99, v8, v6
	v_cvt_f32_f16_e32 v6, v6
	v_cmp_ne_u32_e64 s[0:1], 0, v5
	v_cndmask_b32_e64 v5, 0, 1, s[0:1]
	v_lshl_or_b32 v12, v5, 9, v2
	v_cvt_f64_f32_e32 v[5:6], v6
	v_cmp_eq_u32_e64 s[0:1], s11, v7
	v_cndmask_b32_e64 v7, v9, v12, s[0:1]
	v_lshrrev_b32_e32 v9, 16, v10
	v_mul_f64 v[5:6], v[5:6], s[12:13]
	v_and_or_b32 v7, v9, s14, v7
	v_and_b32_e32 v0, 0xffff, v0
	v_add_co_u32_e64 v3, s[0:1], s6, v3
	v_lshl_or_b32 v0, v7, 16, v0
	v_addc_co_u32_e64 v4, s[0:1], v4, v1, s[0:1]
	global_store_dword v[3:4], v0, off
	v_and_or_b32 v0, v6, s15, v5
	v_cmp_ne_u32_e64 s[0:1], 0, v0
	v_cndmask_b32_e64 v0, 0, 1, s[0:1]
	v_lshrrev_b32_e32 v5, 8, v6
	v_bfe_u32 v7, v6, 20, 11
	v_and_or_b32 v0, v5, s10, v0
	v_sub_u32_e32 v9, 0x3f1, v7
	v_or_b32_e32 v5, 0x1000, v0
	v_med3_i32 v9, v9, 0, 13
	v_lshrrev_b32_e32 v10, v9, v5
	v_lshlrev_b32_e32 v9, v9, v10
	v_mul_f16_sdwa v8, v99, v8 dst_sel:DWORD dst_unused:UNUSED_PAD src0_sel:WORD_1 src1_sel:DWORD
	v_cmp_ne_u32_e64 s[0:1], v9, v5
	v_fma_f16 v8, v99, v11, -v8
	v_cndmask_b32_e64 v5, 0, 1, s[0:1]
	v_add_u32_e32 v9, 0xfffffc10, v7
	v_cvt_f32_f16_e32 v8, v8
	v_or_b32_e32 v5, v10, v5
	v_lshl_or_b32 v7, v9, 12, v0
	v_cmp_gt_i32_e64 s[0:1], 1, v9
	v_cndmask_b32_e64 v5, v7, v5, s[0:1]
	v_and_b32_e32 v7, 7, v5
	v_cmp_lt_i32_e64 s[0:1], 5, v7
	v_cmp_eq_u32_e64 s[2:3], 3, v7
	v_cvt_f64_f32_e32 v[7:8], v8
	v_lshrrev_b32_e32 v5, 2, v5
	s_or_b64 s[0:1], s[2:3], s[0:1]
	v_addc_co_u32_e64 v5, s[0:1], 0, v5, s[0:1]
	v_mul_f64 v[7:8], v[7:8], s[12:13]
	v_cmp_gt_i32_e64 s[0:1], 31, v9
	v_cndmask_b32_e64 v5, v2, v5, s[0:1]
	v_cmp_ne_u32_e64 s[0:1], 0, v0
	v_cndmask_b32_e64 v0, 0, 1, s[0:1]
	v_lshl_or_b32 v0, v0, 9, v2
	v_cmp_eq_u32_e64 s[0:1], s11, v9
	v_cndmask_b32_e64 v0, v5, v0, s[0:1]
	v_lshrrev_b32_e32 v5, 16, v6
	v_and_or_b32 v0, v5, s14, v0
	v_and_or_b32 v5, v8, s15, v7
	v_cmp_ne_u32_e64 s[0:1], 0, v5
	v_cndmask_b32_e64 v5, 0, 1, s[0:1]
	v_lshrrev_b32_e32 v6, 8, v8
	v_and_or_b32 v7, v6, s10, v5
	v_bfe_u32 v6, v8, 20, 11
	v_sub_u32_e32 v9, 0x3f1, v6
	v_or_b32_e32 v5, 0x1000, v7
	v_med3_i32 v9, v9, 0, 13
	v_lshrrev_b32_e32 v10, v9, v5
	v_lshlrev_b32_e32 v9, v9, v10
	v_cmp_ne_u32_e64 s[0:1], v9, v5
	v_cndmask_b32_e64 v5, 0, 1, s[0:1]
	v_add_u32_e32 v11, 0xfffffc10, v6
	v_or_b32_e32 v5, v10, v5
	v_lshl_or_b32 v6, v11, 12, v7
	v_cmp_gt_i32_e64 s[0:1], 1, v11
	v_cndmask_b32_e64 v5, v6, v5, s[0:1]
	v_and_b32_e32 v6, 7, v5
	v_cmp_lt_i32_e64 s[0:1], 5, v6
	v_cmp_eq_u32_e64 s[2:3], 3, v6
	v_lshrrev_b32_e32 v9, 2, v5
	ds_read2_b32 v[5:6], v24 offset0:102 offset1:183
	s_or_b64 s[0:1], s[2:3], s[0:1]
	v_addc_co_u32_e64 v9, s[0:1], 0, v9, s[0:1]
	v_cmp_gt_i32_e64 s[0:1], 31, v11
	s_waitcnt lgkmcnt(0)
	v_lshrrev_b32_e32 v13, 16, v5
	v_cndmask_b32_e64 v12, v2, v9, s[0:1]
	v_mul_f16_sdwa v9, v98, v13 dst_sel:DWORD dst_unused:UNUSED_PAD src0_sel:WORD_1 src1_sel:DWORD
	v_fma_f16 v9, v98, v5, v9
	v_mul_f16_sdwa v5, v98, v5 dst_sel:DWORD dst_unused:UNUSED_PAD src0_sel:WORD_1 src1_sel:DWORD
	v_fma_f16 v5, v98, v13, -v5
	buffer_load_dword v13, off, s[52:55], 0 offset:44 ; 4-byte Folded Reload
	v_cvt_f32_f16_e32 v9, v9
	v_cmp_ne_u32_e64 s[0:1], 0, v7
	v_cndmask_b32_e64 v7, 0, 1, s[0:1]
	v_lshl_or_b32 v7, v7, 9, v2
	v_cvt_f64_f32_e32 v[9:10], v9
	v_cmp_eq_u32_e64 s[0:1], s11, v11
	v_cndmask_b32_e64 v7, v12, v7, s[0:1]
	v_lshrrev_b32_e32 v8, 16, v8
	v_and_or_b32 v11, v8, s14, v7
	v_mul_f64 v[7:8], v[9:10], s[12:13]
	v_and_b32_e32 v0, 0xffff, v0
	v_add_co_u32_e64 v3, s[0:1], s6, v3
	v_lshl_or_b32 v0, v11, 16, v0
	v_addc_co_u32_e64 v4, s[0:1], v4, v1, s[0:1]
	global_store_dword v[3:4], v0, off
	v_and_or_b32 v0, v8, s15, v7
	v_cmp_ne_u32_e64 s[0:1], 0, v0
	v_cndmask_b32_e64 v0, 0, 1, s[0:1]
	v_lshrrev_b32_e32 v7, 8, v8
	v_bfe_u32 v9, v8, 20, 11
	v_and_or_b32 v0, v7, s10, v0
	v_sub_u32_e32 v10, 0x3f1, v9
	v_or_b32_e32 v7, 0x1000, v0
	v_med3_i32 v10, v10, 0, 13
	v_lshrrev_b32_e32 v11, v10, v7
	v_lshlrev_b32_e32 v10, v10, v11
	v_cmp_ne_u32_e64 s[0:1], v10, v7
	v_cndmask_b32_e64 v7, 0, 1, s[0:1]
	v_or_b32_e32 v7, v11, v7
	v_add_u32_e32 v11, 0xfffffc10, v9
	v_cvt_f32_f16_e32 v5, v5
	v_lshl_or_b32 v9, v11, 12, v0
	v_cmp_gt_i32_e64 s[0:1], 1, v11
	v_cndmask_b32_e64 v7, v9, v7, s[0:1]
	v_and_b32_e32 v9, 7, v7
	v_cmp_lt_i32_e64 s[0:1], 5, v9
	v_cmp_eq_u32_e64 s[2:3], 3, v9
	v_cvt_f64_f32_e32 v[9:10], v5
	v_lshrrev_b32_e32 v7, 2, v7
	s_or_b64 s[0:1], s[2:3], s[0:1]
	v_addc_co_u32_e64 v5, s[0:1], 0, v7, s[0:1]
	v_mul_f64 v[9:10], v[9:10], s[12:13]
	v_cmp_gt_i32_e64 s[0:1], 31, v11
	v_cndmask_b32_e64 v5, v2, v5, s[0:1]
	v_cmp_ne_u32_e64 s[0:1], 0, v0
	v_cndmask_b32_e64 v0, 0, 1, s[0:1]
	v_lshl_or_b32 v0, v0, 9, v2
	v_cmp_eq_u32_e64 s[0:1], s11, v11
	v_cndmask_b32_e64 v0, v5, v0, s[0:1]
	v_lshrrev_b32_e32 v5, 16, v8
	v_and_or_b32 v0, v5, s14, v0
	v_and_or_b32 v5, v10, s15, v9
	v_cmp_ne_u32_e64 s[0:1], 0, v5
	v_cndmask_b32_e64 v5, 0, 1, s[0:1]
	v_lshrrev_b32_e32 v7, 8, v10
	v_bfe_u32 v8, v10, 20, 11
	v_and_or_b32 v5, v7, s10, v5
	v_sub_u32_e32 v9, 0x3f1, v8
	v_or_b32_e32 v7, 0x1000, v5
	v_med3_i32 v9, v9, 0, 13
	v_lshrrev_b32_e32 v11, v9, v7
	v_lshlrev_b32_e32 v9, v9, v11
	v_cmp_ne_u32_e64 s[0:1], v9, v7
	v_cndmask_b32_e64 v7, 0, 1, s[0:1]
	v_add_u32_e32 v9, 0xfffffc10, v8
	v_or_b32_e32 v7, v11, v7
	v_lshl_or_b32 v8, v9, 12, v5
	v_cmp_gt_i32_e64 s[0:1], 1, v9
	v_cndmask_b32_e64 v7, v8, v7, s[0:1]
	v_and_b32_e32 v8, 7, v7
	v_cmp_lt_i32_e64 s[0:1], 5, v8
	v_cmp_eq_u32_e64 s[2:3], 3, v8
	v_lshrrev_b32_e32 v7, 2, v7
	s_or_b64 s[0:1], s[2:3], s[0:1]
	v_addc_co_u32_e64 v7, s[0:1], 0, v7, s[0:1]
	v_cmp_gt_i32_e64 s[0:1], 31, v9
	v_lshrrev_b32_e32 v12, 16, v6
	v_cndmask_b32_e64 v11, v2, v7, s[0:1]
	s_waitcnt vmcnt(1)
	v_mul_f16_sdwa v7, v13, v12 dst_sel:DWORD dst_unused:UNUSED_PAD src0_sel:WORD_1 src1_sel:DWORD
	v_fma_f16 v7, v13, v6, v7
	v_cvt_f32_f16_e32 v7, v7
	v_cmp_ne_u32_e64 s[0:1], 0, v5
	v_cndmask_b32_e64 v5, 0, 1, s[0:1]
	v_lshl_or_b32 v5, v5, 9, v2
	v_cvt_f64_f32_e32 v[7:8], v7
	v_cmp_eq_u32_e64 s[0:1], s11, v9
	v_cndmask_b32_e64 v5, v11, v5, s[0:1]
	v_lshrrev_b32_e32 v9, 16, v10
	v_mul_f64 v[7:8], v[7:8], s[12:13]
	v_and_or_b32 v5, v9, s14, v5
	v_and_b32_e32 v0, 0xffff, v0
	v_add_co_u32_e64 v3, s[0:1], s6, v3
	v_lshl_or_b32 v0, v5, 16, v0
	v_addc_co_u32_e64 v4, s[0:1], v4, v1, s[0:1]
	global_store_dword v[3:4], v0, off
	v_and_or_b32 v0, v8, s15, v7
	v_cmp_ne_u32_e64 s[0:1], 0, v0
	v_cndmask_b32_e64 v0, 0, 1, s[0:1]
	v_lshrrev_b32_e32 v5, 8, v8
	v_bfe_u32 v7, v8, 20, 11
	v_and_or_b32 v0, v5, s10, v0
	v_sub_u32_e32 v9, 0x3f1, v7
	v_or_b32_e32 v5, 0x1000, v0
	v_med3_i32 v9, v9, 0, 13
	v_lshrrev_b32_e32 v10, v9, v5
	v_lshlrev_b32_e32 v9, v9, v10
	v_mul_f16_sdwa v6, v13, v6 dst_sel:DWORD dst_unused:UNUSED_PAD src0_sel:WORD_1 src1_sel:DWORD
	v_cmp_ne_u32_e64 s[0:1], v9, v5
	v_fma_f16 v6, v13, v12, -v6
	v_cndmask_b32_e64 v5, 0, 1, s[0:1]
	v_add_u32_e32 v7, 0xfffffc10, v7
	v_cvt_f32_f16_e32 v6, v6
	v_or_b32_e32 v5, v10, v5
	v_lshl_or_b32 v9, v7, 12, v0
	v_cmp_gt_i32_e64 s[0:1], 1, v7
	v_cndmask_b32_e64 v5, v9, v5, s[0:1]
	v_and_b32_e32 v9, 7, v5
	v_cmp_lt_i32_e64 s[0:1], 5, v9
	v_cmp_eq_u32_e64 s[2:3], 3, v9
	v_lshrrev_b32_e32 v9, 2, v5
	v_cvt_f64_f32_e32 v[5:6], v6
	s_or_b64 s[0:1], s[2:3], s[0:1]
	v_addc_co_u32_e64 v9, s[0:1], 0, v9, s[0:1]
	v_mul_f64 v[5:6], v[5:6], s[12:13]
	v_cmp_gt_i32_e64 s[0:1], 31, v7
	v_cndmask_b32_e64 v9, v2, v9, s[0:1]
	v_cmp_ne_u32_e64 s[0:1], 0, v0
	v_cndmask_b32_e64 v0, 0, 1, s[0:1]
	v_lshl_or_b32 v0, v0, 9, v2
	v_cmp_eq_u32_e64 s[0:1], s11, v7
	v_cndmask_b32_e64 v0, v9, v0, s[0:1]
	v_and_or_b32 v5, v6, s15, v5
	v_lshrrev_b32_e32 v7, 16, v8
	v_cmp_ne_u32_e64 s[0:1], 0, v5
	v_and_or_b32 v0, v7, s14, v0
	v_cndmask_b32_e64 v5, 0, 1, s[0:1]
	v_lshrrev_b32_e32 v7, 8, v6
	v_bfe_u32 v8, v6, 20, 11
	v_and_or_b32 v5, v7, s10, v5
	v_sub_u32_e32 v9, 0x3f1, v8
	v_or_b32_e32 v7, 0x1000, v5
	v_med3_i32 v9, v9, 0, 13
	v_lshrrev_b32_e32 v10, v9, v7
	v_lshlrev_b32_e32 v9, v9, v10
	v_cmp_ne_u32_e64 s[0:1], v9, v7
	v_cndmask_b32_e64 v7, 0, 1, s[0:1]
	v_add_u32_e32 v11, 0xfffffc10, v8
	v_or_b32_e32 v7, v10, v7
	v_lshl_or_b32 v8, v11, 12, v5
	v_cmp_gt_i32_e64 s[0:1], 1, v11
	v_cndmask_b32_e64 v7, v8, v7, s[0:1]
	v_and_b32_e32 v8, 7, v7
	v_cmp_lt_i32_e64 s[0:1], 5, v8
	v_cmp_eq_u32_e64 s[2:3], 3, v8
	v_lshrrev_b32_e32 v9, 2, v7
	ds_read2_b32 v[7:8], v22 offset0:136 offset1:217
	s_or_b64 s[0:1], s[2:3], s[0:1]
	v_addc_co_u32_e64 v9, s[0:1], 0, v9, s[0:1]
	v_cmp_gt_i32_e64 s[0:1], 31, v11
	s_waitcnt lgkmcnt(0)
	v_lshrrev_b32_e32 v13, 16, v7
	v_cndmask_b32_e64 v12, v2, v9, s[0:1]
	v_mul_f16_sdwa v9, v14, v13 dst_sel:DWORD dst_unused:UNUSED_PAD src0_sel:WORD_1 src1_sel:DWORD
	v_fma_f16 v9, v14, v7, v9
	v_mul_f16_sdwa v7, v14, v7 dst_sel:DWORD dst_unused:UNUSED_PAD src0_sel:WORD_1 src1_sel:DWORD
	v_fma_f16 v7, v14, v13, -v7
	buffer_load_dword v13, off, s[52:55], 0 offset:36 ; 4-byte Folded Reload
	buffer_load_dword v14, off, s[52:55], 0 offset:32 ; 4-byte Folded Reload
	v_cvt_f32_f16_e32 v9, v9
	v_cmp_ne_u32_e64 s[0:1], 0, v5
	v_cndmask_b32_e64 v5, 0, 1, s[0:1]
	v_lshl_or_b32 v5, v5, 9, v2
	v_cvt_f64_f32_e32 v[9:10], v9
	v_cmp_eq_u32_e64 s[0:1], s11, v11
	v_cndmask_b32_e64 v5, v12, v5, s[0:1]
	v_lshrrev_b32_e32 v6, 16, v6
	v_and_or_b32 v11, v6, s14, v5
	v_mul_f64 v[5:6], v[9:10], s[12:13]
	v_and_b32_e32 v0, 0xffff, v0
	v_add_co_u32_e64 v3, s[0:1], s6, v3
	v_lshl_or_b32 v0, v11, 16, v0
	v_addc_co_u32_e64 v4, s[0:1], v4, v1, s[0:1]
	global_store_dword v[3:4], v0, off
	v_and_or_b32 v0, v6, s15, v5
	v_cmp_ne_u32_e64 s[0:1], 0, v0
	v_cndmask_b32_e64 v0, 0, 1, s[0:1]
	v_lshrrev_b32_e32 v5, 8, v6
	v_bfe_u32 v9, v6, 20, 11
	v_and_or_b32 v0, v5, s10, v0
	v_sub_u32_e32 v10, 0x3f1, v9
	v_or_b32_e32 v5, 0x1000, v0
	v_med3_i32 v10, v10, 0, 13
	v_lshrrev_b32_e32 v11, v10, v5
	v_lshlrev_b32_e32 v10, v10, v11
	v_cmp_ne_u32_e64 s[0:1], v10, v5
	v_cndmask_b32_e64 v5, 0, 1, s[0:1]
	v_or_b32_e32 v5, v11, v5
	v_add_u32_e32 v11, 0xfffffc10, v9
	v_cvt_f32_f16_e32 v7, v7
	v_lshl_or_b32 v9, v11, 12, v0
	v_cmp_gt_i32_e64 s[0:1], 1, v11
	v_cndmask_b32_e64 v5, v9, v5, s[0:1]
	v_and_b32_e32 v9, 7, v5
	v_cmp_lt_i32_e64 s[0:1], 5, v9
	v_cmp_eq_u32_e64 s[2:3], 3, v9
	v_cvt_f64_f32_e32 v[9:10], v7
	v_lshrrev_b32_e32 v5, 2, v5
	s_or_b64 s[0:1], s[2:3], s[0:1]
	v_addc_co_u32_e64 v5, s[0:1], 0, v5, s[0:1]
	v_mul_f64 v[9:10], v[9:10], s[12:13]
	v_cmp_gt_i32_e64 s[0:1], 31, v11
	v_cndmask_b32_e64 v5, v2, v5, s[0:1]
	v_cmp_ne_u32_e64 s[0:1], 0, v0
	v_cndmask_b32_e64 v0, 0, 1, s[0:1]
	v_lshl_or_b32 v0, v0, 9, v2
	v_cmp_eq_u32_e64 s[0:1], s11, v11
	v_cndmask_b32_e64 v0, v5, v0, s[0:1]
	v_lshrrev_b32_e32 v5, 16, v6
	v_and_or_b32 v0, v5, s14, v0
	v_and_or_b32 v5, v10, s15, v9
	v_cmp_ne_u32_e64 s[0:1], 0, v5
	v_cndmask_b32_e64 v5, 0, 1, s[0:1]
	v_lshrrev_b32_e32 v6, 8, v10
	v_bfe_u32 v7, v10, 20, 11
	v_and_or_b32 v5, v6, s10, v5
	v_sub_u32_e32 v9, 0x3f1, v7
	v_or_b32_e32 v6, 0x1000, v5
	v_med3_i32 v9, v9, 0, 13
	v_lshrrev_b32_e32 v11, v9, v6
	v_lshlrev_b32_e32 v9, v9, v11
	v_cmp_ne_u32_e64 s[0:1], v9, v6
	v_cndmask_b32_e64 v6, 0, 1, s[0:1]
	v_add_u32_e32 v7, 0xfffffc10, v7
	v_or_b32_e32 v6, v11, v6
	v_lshl_or_b32 v9, v7, 12, v5
	v_cmp_gt_i32_e64 s[0:1], 1, v7
	v_cndmask_b32_e64 v6, v9, v6, s[0:1]
	v_and_b32_e32 v9, 7, v6
	v_cmp_lt_i32_e64 s[0:1], 5, v9
	v_cmp_eq_u32_e64 s[2:3], 3, v9
	v_lshrrev_b32_e32 v6, 2, v6
	s_or_b64 s[0:1], s[2:3], s[0:1]
	v_addc_co_u32_e64 v6, s[0:1], 0, v6, s[0:1]
	v_cmp_gt_i32_e64 s[0:1], 31, v7
	v_lshrrev_b32_e32 v11, 16, v8
	v_cndmask_b32_e64 v9, v2, v6, s[0:1]
	s_waitcnt vmcnt(2)
	v_mul_f16_sdwa v6, v13, v11 dst_sel:DWORD dst_unused:UNUSED_PAD src0_sel:WORD_1 src1_sel:DWORD
	v_fma_f16 v6, v13, v8, v6
	v_cvt_f32_f16_e32 v6, v6
	v_cmp_ne_u32_e64 s[0:1], 0, v5
	v_cndmask_b32_e64 v5, 0, 1, s[0:1]
	v_lshl_or_b32 v12, v5, 9, v2
	v_cvt_f64_f32_e32 v[5:6], v6
	v_cmp_eq_u32_e64 s[0:1], s11, v7
	v_cndmask_b32_e64 v7, v9, v12, s[0:1]
	v_lshrrev_b32_e32 v9, 16, v10
	v_mul_f64 v[5:6], v[5:6], s[12:13]
	v_and_or_b32 v7, v9, s14, v7
	v_and_b32_e32 v0, 0xffff, v0
	v_add_co_u32_e64 v3, s[0:1], s6, v3
	v_lshl_or_b32 v0, v7, 16, v0
	v_addc_co_u32_e64 v4, s[0:1], v4, v1, s[0:1]
	global_store_dword v[3:4], v0, off
	v_and_or_b32 v0, v6, s15, v5
	v_cmp_ne_u32_e64 s[0:1], 0, v0
	v_cndmask_b32_e64 v0, 0, 1, s[0:1]
	v_lshrrev_b32_e32 v5, 8, v6
	v_bfe_u32 v7, v6, 20, 11
	v_and_or_b32 v0, v5, s10, v0
	v_sub_u32_e32 v9, 0x3f1, v7
	v_or_b32_e32 v5, 0x1000, v0
	v_med3_i32 v9, v9, 0, 13
	v_lshrrev_b32_e32 v10, v9, v5
	v_lshlrev_b32_e32 v9, v9, v10
	v_mul_f16_sdwa v8, v13, v8 dst_sel:DWORD dst_unused:UNUSED_PAD src0_sel:WORD_1 src1_sel:DWORD
	v_cmp_ne_u32_e64 s[0:1], v9, v5
	v_fma_f16 v8, v13, v11, -v8
	v_cndmask_b32_e64 v5, 0, 1, s[0:1]
	v_add_u32_e32 v9, 0xfffffc10, v7
	v_cvt_f32_f16_e32 v8, v8
	v_or_b32_e32 v5, v10, v5
	v_lshl_or_b32 v7, v9, 12, v0
	v_cmp_gt_i32_e64 s[0:1], 1, v9
	v_cndmask_b32_e64 v5, v7, v5, s[0:1]
	v_and_b32_e32 v7, 7, v5
	v_cmp_lt_i32_e64 s[0:1], 5, v7
	v_cmp_eq_u32_e64 s[2:3], 3, v7
	v_cvt_f64_f32_e32 v[7:8], v8
	v_lshrrev_b32_e32 v5, 2, v5
	s_or_b64 s[0:1], s[2:3], s[0:1]
	v_addc_co_u32_e64 v5, s[0:1], 0, v5, s[0:1]
	v_mul_f64 v[7:8], v[7:8], s[12:13]
	v_cmp_gt_i32_e64 s[0:1], 31, v9
	v_cndmask_b32_e64 v5, v2, v5, s[0:1]
	v_cmp_ne_u32_e64 s[0:1], 0, v0
	v_cndmask_b32_e64 v0, 0, 1, s[0:1]
	v_lshl_or_b32 v0, v0, 9, v2
	v_cmp_eq_u32_e64 s[0:1], s11, v9
	v_cndmask_b32_e64 v0, v5, v0, s[0:1]
	v_lshrrev_b32_e32 v5, 16, v6
	v_and_or_b32 v0, v5, s14, v0
	v_and_or_b32 v5, v8, s15, v7
	v_cmp_ne_u32_e64 s[0:1], 0, v5
	v_cndmask_b32_e64 v5, 0, 1, s[0:1]
	v_lshrrev_b32_e32 v6, 8, v8
	v_and_or_b32 v7, v6, s10, v5
	v_bfe_u32 v6, v8, 20, 11
	v_sub_u32_e32 v9, 0x3f1, v6
	v_or_b32_e32 v5, 0x1000, v7
	v_med3_i32 v9, v9, 0, 13
	v_lshrrev_b32_e32 v10, v9, v5
	v_lshlrev_b32_e32 v9, v9, v10
	v_cmp_ne_u32_e64 s[0:1], v9, v5
	v_cndmask_b32_e64 v5, 0, 1, s[0:1]
	v_add_u32_e32 v11, 0xfffffc10, v6
	v_or_b32_e32 v5, v10, v5
	v_lshl_or_b32 v6, v11, 12, v7
	v_cmp_gt_i32_e64 s[0:1], 1, v11
	v_cndmask_b32_e64 v5, v6, v5, s[0:1]
	v_and_b32_e32 v6, 7, v5
	v_cmp_lt_i32_e64 s[0:1], 5, v6
	v_cmp_eq_u32_e64 s[2:3], 3, v6
	v_lshrrev_b32_e32 v9, 2, v5
	ds_read2_b32 v[5:6], v21 offset0:42 offset1:123
	s_or_b64 s[0:1], s[2:3], s[0:1]
	v_addc_co_u32_e64 v9, s[0:1], 0, v9, s[0:1]
	v_cmp_gt_i32_e64 s[0:1], 31, v11
	s_waitcnt lgkmcnt(0)
	v_lshrrev_b32_e32 v13, 16, v5
	v_cndmask_b32_e64 v12, v2, v9, s[0:1]
	s_waitcnt vmcnt(2)
	v_mul_f16_sdwa v9, v14, v13 dst_sel:DWORD dst_unused:UNUSED_PAD src0_sel:WORD_1 src1_sel:DWORD
	v_fma_f16 v9, v14, v5, v9
	v_mul_f16_sdwa v5, v14, v5 dst_sel:DWORD dst_unused:UNUSED_PAD src0_sel:WORD_1 src1_sel:DWORD
	v_fma_f16 v5, v14, v13, -v5
	buffer_load_dword v13, off, s[52:55], 0 offset:28 ; 4-byte Folded Reload
	buffer_load_dword v14, off, s[52:55], 0 offset:24 ; 4-byte Folded Reload
	v_cvt_f32_f16_e32 v9, v9
	v_cmp_ne_u32_e64 s[0:1], 0, v7
	v_cndmask_b32_e64 v7, 0, 1, s[0:1]
	v_lshl_or_b32 v7, v7, 9, v2
	v_cvt_f64_f32_e32 v[9:10], v9
	v_cmp_eq_u32_e64 s[0:1], s11, v11
	v_cndmask_b32_e64 v7, v12, v7, s[0:1]
	v_lshrrev_b32_e32 v8, 16, v8
	v_and_or_b32 v11, v8, s14, v7
	v_mul_f64 v[7:8], v[9:10], s[12:13]
	v_and_b32_e32 v0, 0xffff, v0
	v_add_co_u32_e64 v3, s[0:1], s6, v3
	v_lshl_or_b32 v0, v11, 16, v0
	v_addc_co_u32_e64 v4, s[0:1], v4, v1, s[0:1]
	global_store_dword v[3:4], v0, off
	v_and_or_b32 v0, v8, s15, v7
	v_cmp_ne_u32_e64 s[0:1], 0, v0
	v_cndmask_b32_e64 v0, 0, 1, s[0:1]
	v_lshrrev_b32_e32 v7, 8, v8
	v_bfe_u32 v9, v8, 20, 11
	v_and_or_b32 v0, v7, s10, v0
	v_sub_u32_e32 v10, 0x3f1, v9
	v_or_b32_e32 v7, 0x1000, v0
	v_med3_i32 v10, v10, 0, 13
	v_lshrrev_b32_e32 v11, v10, v7
	v_lshlrev_b32_e32 v10, v10, v11
	v_cmp_ne_u32_e64 s[0:1], v10, v7
	v_cndmask_b32_e64 v7, 0, 1, s[0:1]
	v_or_b32_e32 v7, v11, v7
	v_add_u32_e32 v11, 0xfffffc10, v9
	v_cvt_f32_f16_e32 v5, v5
	v_lshl_or_b32 v9, v11, 12, v0
	v_cmp_gt_i32_e64 s[0:1], 1, v11
	v_cndmask_b32_e64 v7, v9, v7, s[0:1]
	v_and_b32_e32 v9, 7, v7
	v_cmp_lt_i32_e64 s[0:1], 5, v9
	v_cmp_eq_u32_e64 s[2:3], 3, v9
	v_cvt_f64_f32_e32 v[9:10], v5
	v_lshrrev_b32_e32 v7, 2, v7
	s_or_b64 s[0:1], s[2:3], s[0:1]
	v_addc_co_u32_e64 v5, s[0:1], 0, v7, s[0:1]
	v_mul_f64 v[9:10], v[9:10], s[12:13]
	v_cmp_gt_i32_e64 s[0:1], 31, v11
	v_cndmask_b32_e64 v5, v2, v5, s[0:1]
	v_cmp_ne_u32_e64 s[0:1], 0, v0
	v_cndmask_b32_e64 v0, 0, 1, s[0:1]
	v_lshl_or_b32 v0, v0, 9, v2
	v_cmp_eq_u32_e64 s[0:1], s11, v11
	v_cndmask_b32_e64 v0, v5, v0, s[0:1]
	v_lshrrev_b32_e32 v5, 16, v8
	v_and_or_b32 v0, v5, s14, v0
	v_and_or_b32 v5, v10, s15, v9
	v_cmp_ne_u32_e64 s[0:1], 0, v5
	v_cndmask_b32_e64 v5, 0, 1, s[0:1]
	v_lshrrev_b32_e32 v7, 8, v10
	v_bfe_u32 v8, v10, 20, 11
	v_and_or_b32 v5, v7, s10, v5
	v_sub_u32_e32 v9, 0x3f1, v8
	v_or_b32_e32 v7, 0x1000, v5
	v_med3_i32 v9, v9, 0, 13
	v_lshrrev_b32_e32 v11, v9, v7
	v_lshlrev_b32_e32 v9, v9, v11
	v_cmp_ne_u32_e64 s[0:1], v9, v7
	v_cndmask_b32_e64 v7, 0, 1, s[0:1]
	v_add_u32_e32 v9, 0xfffffc10, v8
	v_or_b32_e32 v7, v11, v7
	v_lshl_or_b32 v8, v9, 12, v5
	v_cmp_gt_i32_e64 s[0:1], 1, v9
	v_cndmask_b32_e64 v7, v8, v7, s[0:1]
	v_and_b32_e32 v8, 7, v7
	v_cmp_lt_i32_e64 s[0:1], 5, v8
	v_cmp_eq_u32_e64 s[2:3], 3, v8
	v_lshrrev_b32_e32 v7, 2, v7
	s_or_b64 s[0:1], s[2:3], s[0:1]
	v_addc_co_u32_e64 v7, s[0:1], 0, v7, s[0:1]
	v_cmp_gt_i32_e64 s[0:1], 31, v9
	v_lshrrev_b32_e32 v12, 16, v6
	v_cndmask_b32_e64 v11, v2, v7, s[0:1]
	s_waitcnt vmcnt(2)
	v_mul_f16_sdwa v7, v13, v12 dst_sel:DWORD dst_unused:UNUSED_PAD src0_sel:WORD_1 src1_sel:DWORD
	v_fma_f16 v7, v13, v6, v7
	v_cvt_f32_f16_e32 v7, v7
	v_cmp_ne_u32_e64 s[0:1], 0, v5
	v_cndmask_b32_e64 v5, 0, 1, s[0:1]
	v_lshl_or_b32 v5, v5, 9, v2
	v_cvt_f64_f32_e32 v[7:8], v7
	v_cmp_eq_u32_e64 s[0:1], s11, v9
	v_cndmask_b32_e64 v5, v11, v5, s[0:1]
	v_lshrrev_b32_e32 v9, 16, v10
	v_mul_f64 v[7:8], v[7:8], s[12:13]
	v_and_or_b32 v5, v9, s14, v5
	v_and_b32_e32 v0, 0xffff, v0
	v_add_co_u32_e64 v3, s[0:1], s6, v3
	v_lshl_or_b32 v0, v5, 16, v0
	v_addc_co_u32_e64 v4, s[0:1], v4, v1, s[0:1]
	global_store_dword v[3:4], v0, off
	v_and_or_b32 v0, v8, s15, v7
	v_cmp_ne_u32_e64 s[0:1], 0, v0
	v_cndmask_b32_e64 v0, 0, 1, s[0:1]
	v_lshrrev_b32_e32 v5, 8, v8
	v_bfe_u32 v7, v8, 20, 11
	v_and_or_b32 v0, v5, s10, v0
	v_sub_u32_e32 v9, 0x3f1, v7
	v_or_b32_e32 v5, 0x1000, v0
	v_med3_i32 v9, v9, 0, 13
	v_lshrrev_b32_e32 v10, v9, v5
	v_lshlrev_b32_e32 v9, v9, v10
	v_mul_f16_sdwa v6, v13, v6 dst_sel:DWORD dst_unused:UNUSED_PAD src0_sel:WORD_1 src1_sel:DWORD
	v_cmp_ne_u32_e64 s[0:1], v9, v5
	v_fma_f16 v6, v13, v12, -v6
	v_cndmask_b32_e64 v5, 0, 1, s[0:1]
	v_add_u32_e32 v7, 0xfffffc10, v7
	v_cvt_f32_f16_e32 v6, v6
	v_or_b32_e32 v5, v10, v5
	v_lshl_or_b32 v9, v7, 12, v0
	v_cmp_gt_i32_e64 s[0:1], 1, v7
	v_cndmask_b32_e64 v5, v9, v5, s[0:1]
	v_and_b32_e32 v9, 7, v5
	v_cmp_lt_i32_e64 s[0:1], 5, v9
	v_cmp_eq_u32_e64 s[2:3], 3, v9
	v_lshrrev_b32_e32 v9, 2, v5
	v_cvt_f64_f32_e32 v[5:6], v6
	s_or_b64 s[0:1], s[2:3], s[0:1]
	v_addc_co_u32_e64 v9, s[0:1], 0, v9, s[0:1]
	v_mul_f64 v[5:6], v[5:6], s[12:13]
	v_cmp_gt_i32_e64 s[0:1], 31, v7
	v_cndmask_b32_e64 v9, v2, v9, s[0:1]
	v_cmp_ne_u32_e64 s[0:1], 0, v0
	v_cndmask_b32_e64 v0, 0, 1, s[0:1]
	v_lshl_or_b32 v0, v0, 9, v2
	v_cmp_eq_u32_e64 s[0:1], s11, v7
	v_cndmask_b32_e64 v0, v9, v0, s[0:1]
	v_and_or_b32 v5, v6, s15, v5
	v_lshrrev_b32_e32 v7, 16, v8
	v_cmp_ne_u32_e64 s[0:1], 0, v5
	v_and_or_b32 v0, v7, s14, v0
	v_cndmask_b32_e64 v5, 0, 1, s[0:1]
	v_lshrrev_b32_e32 v7, 8, v6
	v_bfe_u32 v8, v6, 20, 11
	v_and_or_b32 v5, v7, s10, v5
	v_sub_u32_e32 v9, 0x3f1, v8
	v_or_b32_e32 v7, 0x1000, v5
	v_med3_i32 v9, v9, 0, 13
	v_lshrrev_b32_e32 v10, v9, v7
	v_lshlrev_b32_e32 v9, v9, v10
	v_cmp_ne_u32_e64 s[0:1], v9, v7
	v_cndmask_b32_e64 v7, 0, 1, s[0:1]
	v_add_u32_e32 v11, 0xfffffc10, v8
	v_or_b32_e32 v7, v10, v7
	v_lshl_or_b32 v8, v11, 12, v5
	v_cmp_gt_i32_e64 s[0:1], 1, v11
	v_cndmask_b32_e64 v7, v8, v7, s[0:1]
	v_and_b32_e32 v8, 7, v7
	v_cmp_lt_i32_e64 s[0:1], 5, v8
	v_cmp_eq_u32_e64 s[2:3], 3, v8
	v_lshrrev_b32_e32 v9, 2, v7
	ds_read2_b32 v[7:8], v20 offset0:76 offset1:157
	s_or_b64 s[0:1], s[2:3], s[0:1]
	v_addc_co_u32_e64 v9, s[0:1], 0, v9, s[0:1]
	v_cmp_gt_i32_e64 s[0:1], 31, v11
	s_waitcnt lgkmcnt(0)
	v_lshrrev_b32_e32 v13, 16, v7
	v_cndmask_b32_e64 v12, v2, v9, s[0:1]
	s_waitcnt vmcnt(2)
	v_mul_f16_sdwa v9, v14, v13 dst_sel:DWORD dst_unused:UNUSED_PAD src0_sel:WORD_1 src1_sel:DWORD
	v_fma_f16 v9, v14, v7, v9
	v_mul_f16_sdwa v7, v14, v7 dst_sel:DWORD dst_unused:UNUSED_PAD src0_sel:WORD_1 src1_sel:DWORD
	v_fma_f16 v7, v14, v13, -v7
	buffer_load_dword v13, off, s[52:55], 0 offset:20 ; 4-byte Folded Reload
	buffer_load_dword v14, off, s[52:55], 0 offset:16 ; 4-byte Folded Reload
	v_cvt_f32_f16_e32 v9, v9
	v_cmp_ne_u32_e64 s[0:1], 0, v5
	v_cndmask_b32_e64 v5, 0, 1, s[0:1]
	v_lshl_or_b32 v5, v5, 9, v2
	v_cvt_f64_f32_e32 v[9:10], v9
	v_cmp_eq_u32_e64 s[0:1], s11, v11
	v_cndmask_b32_e64 v5, v12, v5, s[0:1]
	v_lshrrev_b32_e32 v6, 16, v6
	v_and_or_b32 v11, v6, s14, v5
	v_mul_f64 v[5:6], v[9:10], s[12:13]
	v_and_b32_e32 v0, 0xffff, v0
	v_add_co_u32_e64 v3, s[0:1], s6, v3
	v_lshl_or_b32 v0, v11, 16, v0
	v_addc_co_u32_e64 v4, s[0:1], v4, v1, s[0:1]
	global_store_dword v[3:4], v0, off
	v_and_or_b32 v0, v6, s15, v5
	v_cmp_ne_u32_e64 s[0:1], 0, v0
	v_cndmask_b32_e64 v0, 0, 1, s[0:1]
	v_lshrrev_b32_e32 v5, 8, v6
	v_bfe_u32 v9, v6, 20, 11
	v_and_or_b32 v0, v5, s10, v0
	v_sub_u32_e32 v10, 0x3f1, v9
	v_or_b32_e32 v5, 0x1000, v0
	v_med3_i32 v10, v10, 0, 13
	v_lshrrev_b32_e32 v11, v10, v5
	v_lshlrev_b32_e32 v10, v10, v11
	v_cmp_ne_u32_e64 s[0:1], v10, v5
	v_cndmask_b32_e64 v5, 0, 1, s[0:1]
	v_or_b32_e32 v5, v11, v5
	v_add_u32_e32 v11, 0xfffffc10, v9
	v_cvt_f32_f16_e32 v7, v7
	v_lshl_or_b32 v9, v11, 12, v0
	v_cmp_gt_i32_e64 s[0:1], 1, v11
	v_cndmask_b32_e64 v5, v9, v5, s[0:1]
	v_and_b32_e32 v9, 7, v5
	v_cmp_lt_i32_e64 s[0:1], 5, v9
	v_cmp_eq_u32_e64 s[2:3], 3, v9
	v_cvt_f64_f32_e32 v[9:10], v7
	v_lshrrev_b32_e32 v5, 2, v5
	s_or_b64 s[0:1], s[2:3], s[0:1]
	v_addc_co_u32_e64 v5, s[0:1], 0, v5, s[0:1]
	v_mul_f64 v[9:10], v[9:10], s[12:13]
	v_cmp_gt_i32_e64 s[0:1], 31, v11
	v_cndmask_b32_e64 v5, v2, v5, s[0:1]
	v_cmp_ne_u32_e64 s[0:1], 0, v0
	v_cndmask_b32_e64 v0, 0, 1, s[0:1]
	v_lshl_or_b32 v0, v0, 9, v2
	v_cmp_eq_u32_e64 s[0:1], s11, v11
	v_cndmask_b32_e64 v0, v5, v0, s[0:1]
	v_lshrrev_b32_e32 v5, 16, v6
	v_and_or_b32 v0, v5, s14, v0
	v_and_or_b32 v5, v10, s15, v9
	v_cmp_ne_u32_e64 s[0:1], 0, v5
	v_cndmask_b32_e64 v5, 0, 1, s[0:1]
	v_lshrrev_b32_e32 v6, 8, v10
	v_bfe_u32 v7, v10, 20, 11
	v_and_or_b32 v5, v6, s10, v5
	v_sub_u32_e32 v9, 0x3f1, v7
	v_or_b32_e32 v6, 0x1000, v5
	v_med3_i32 v9, v9, 0, 13
	v_lshrrev_b32_e32 v11, v9, v6
	v_lshlrev_b32_e32 v9, v9, v11
	v_cmp_ne_u32_e64 s[0:1], v9, v6
	v_cndmask_b32_e64 v6, 0, 1, s[0:1]
	v_add_u32_e32 v7, 0xfffffc10, v7
	v_or_b32_e32 v6, v11, v6
	v_lshl_or_b32 v9, v7, 12, v5
	v_cmp_gt_i32_e64 s[0:1], 1, v7
	v_cndmask_b32_e64 v6, v9, v6, s[0:1]
	v_and_b32_e32 v9, 7, v6
	v_cmp_lt_i32_e64 s[0:1], 5, v9
	v_cmp_eq_u32_e64 s[2:3], 3, v9
	v_lshrrev_b32_e32 v6, 2, v6
	s_or_b64 s[0:1], s[2:3], s[0:1]
	v_addc_co_u32_e64 v6, s[0:1], 0, v6, s[0:1]
	v_cmp_gt_i32_e64 s[0:1], 31, v7
	v_lshrrev_b32_e32 v11, 16, v8
	v_cndmask_b32_e64 v9, v2, v6, s[0:1]
	s_waitcnt vmcnt(2)
	v_mul_f16_sdwa v6, v13, v11 dst_sel:DWORD dst_unused:UNUSED_PAD src0_sel:WORD_1 src1_sel:DWORD
	v_fma_f16 v6, v13, v8, v6
	v_cvt_f32_f16_e32 v6, v6
	v_cmp_ne_u32_e64 s[0:1], 0, v5
	v_cndmask_b32_e64 v5, 0, 1, s[0:1]
	v_lshl_or_b32 v12, v5, 9, v2
	v_cvt_f64_f32_e32 v[5:6], v6
	v_cmp_eq_u32_e64 s[0:1], s11, v7
	v_cndmask_b32_e64 v7, v9, v12, s[0:1]
	v_lshrrev_b32_e32 v9, 16, v10
	v_mul_f64 v[5:6], v[5:6], s[12:13]
	v_and_or_b32 v7, v9, s14, v7
	v_and_b32_e32 v0, 0xffff, v0
	v_add_co_u32_e64 v3, s[0:1], s6, v3
	v_lshl_or_b32 v0, v7, 16, v0
	v_addc_co_u32_e64 v4, s[0:1], v4, v1, s[0:1]
	global_store_dword v[3:4], v0, off
	v_and_or_b32 v0, v6, s15, v5
	v_cmp_ne_u32_e64 s[0:1], 0, v0
	v_cndmask_b32_e64 v0, 0, 1, s[0:1]
	v_lshrrev_b32_e32 v5, 8, v6
	v_bfe_u32 v7, v6, 20, 11
	v_and_or_b32 v0, v5, s10, v0
	v_sub_u32_e32 v9, 0x3f1, v7
	v_or_b32_e32 v5, 0x1000, v0
	v_med3_i32 v9, v9, 0, 13
	v_lshrrev_b32_e32 v10, v9, v5
	v_lshlrev_b32_e32 v9, v9, v10
	v_mul_f16_sdwa v8, v13, v8 dst_sel:DWORD dst_unused:UNUSED_PAD src0_sel:WORD_1 src1_sel:DWORD
	v_cmp_ne_u32_e64 s[0:1], v9, v5
	v_fma_f16 v8, v13, v11, -v8
	v_cndmask_b32_e64 v5, 0, 1, s[0:1]
	v_add_u32_e32 v9, 0xfffffc10, v7
	v_cvt_f32_f16_e32 v8, v8
	v_or_b32_e32 v5, v10, v5
	v_lshl_or_b32 v7, v9, 12, v0
	v_cmp_gt_i32_e64 s[0:1], 1, v9
	v_cndmask_b32_e64 v5, v7, v5, s[0:1]
	v_and_b32_e32 v7, 7, v5
	v_cmp_lt_i32_e64 s[0:1], 5, v7
	v_cmp_eq_u32_e64 s[2:3], 3, v7
	v_cvt_f64_f32_e32 v[7:8], v8
	v_lshrrev_b32_e32 v5, 2, v5
	s_or_b64 s[0:1], s[2:3], s[0:1]
	v_addc_co_u32_e64 v5, s[0:1], 0, v5, s[0:1]
	v_mul_f64 v[7:8], v[7:8], s[12:13]
	v_cmp_gt_i32_e64 s[0:1], 31, v9
	v_cndmask_b32_e64 v5, v2, v5, s[0:1]
	v_cmp_ne_u32_e64 s[0:1], 0, v0
	v_cndmask_b32_e64 v0, 0, 1, s[0:1]
	v_lshl_or_b32 v0, v0, 9, v2
	v_cmp_eq_u32_e64 s[0:1], s11, v9
	v_cndmask_b32_e64 v0, v5, v0, s[0:1]
	v_lshrrev_b32_e32 v5, 16, v6
	v_and_or_b32 v0, v5, s14, v0
	v_and_or_b32 v5, v8, s15, v7
	v_cmp_ne_u32_e64 s[0:1], 0, v5
	v_cndmask_b32_e64 v5, 0, 1, s[0:1]
	v_lshrrev_b32_e32 v6, 8, v8
	v_and_or_b32 v7, v6, s10, v5
	v_bfe_u32 v6, v8, 20, 11
	v_sub_u32_e32 v9, 0x3f1, v6
	v_or_b32_e32 v5, 0x1000, v7
	v_med3_i32 v9, v9, 0, 13
	v_lshrrev_b32_e32 v10, v9, v5
	v_lshlrev_b32_e32 v9, v9, v10
	v_cmp_ne_u32_e64 s[0:1], v9, v5
	v_cndmask_b32_e64 v5, 0, 1, s[0:1]
	v_add_u32_e32 v11, 0xfffffc10, v6
	v_or_b32_e32 v5, v10, v5
	v_lshl_or_b32 v6, v11, 12, v7
	v_cmp_gt_i32_e64 s[0:1], 1, v11
	v_cndmask_b32_e64 v5, v6, v5, s[0:1]
	v_and_b32_e32 v6, 7, v5
	v_cmp_lt_i32_e64 s[0:1], 5, v6
	v_cmp_eq_u32_e64 s[2:3], 3, v6
	v_lshrrev_b32_e32 v9, 2, v5
	ds_read2_b32 v[5:6], v19 offset0:110 offset1:191
	s_or_b64 s[0:1], s[2:3], s[0:1]
	v_addc_co_u32_e64 v9, s[0:1], 0, v9, s[0:1]
	v_cmp_gt_i32_e64 s[0:1], 31, v11
	s_waitcnt lgkmcnt(0)
	v_lshrrev_b32_e32 v13, 16, v5
	v_cndmask_b32_e64 v12, v2, v9, s[0:1]
	s_waitcnt vmcnt(2)
	v_mul_f16_sdwa v9, v14, v13 dst_sel:DWORD dst_unused:UNUSED_PAD src0_sel:WORD_1 src1_sel:DWORD
	v_fma_f16 v9, v14, v5, v9
	v_mul_f16_sdwa v5, v14, v5 dst_sel:DWORD dst_unused:UNUSED_PAD src0_sel:WORD_1 src1_sel:DWORD
	v_fma_f16 v5, v14, v13, -v5
	buffer_load_dword v13, off, s[52:55], 0 offset:12 ; 4-byte Folded Reload
	v_cvt_f32_f16_e32 v9, v9
	v_cmp_ne_u32_e64 s[0:1], 0, v7
	v_cndmask_b32_e64 v7, 0, 1, s[0:1]
	v_lshl_or_b32 v7, v7, 9, v2
	v_cvt_f64_f32_e32 v[9:10], v9
	v_cmp_eq_u32_e64 s[0:1], s11, v11
	v_cndmask_b32_e64 v7, v12, v7, s[0:1]
	v_lshrrev_b32_e32 v8, 16, v8
	v_and_or_b32 v11, v8, s14, v7
	v_mul_f64 v[7:8], v[9:10], s[12:13]
	v_and_b32_e32 v0, 0xffff, v0
	v_add_co_u32_e64 v3, s[0:1], s6, v3
	v_lshl_or_b32 v0, v11, 16, v0
	v_addc_co_u32_e64 v4, s[0:1], v4, v1, s[0:1]
	global_store_dword v[3:4], v0, off
	v_and_or_b32 v0, v8, s15, v7
	v_cmp_ne_u32_e64 s[0:1], 0, v0
	v_cndmask_b32_e64 v0, 0, 1, s[0:1]
	v_lshrrev_b32_e32 v7, 8, v8
	v_bfe_u32 v9, v8, 20, 11
	v_and_or_b32 v0, v7, s10, v0
	v_sub_u32_e32 v10, 0x3f1, v9
	v_or_b32_e32 v7, 0x1000, v0
	v_med3_i32 v10, v10, 0, 13
	v_lshrrev_b32_e32 v11, v10, v7
	v_lshlrev_b32_e32 v10, v10, v11
	v_cmp_ne_u32_e64 s[0:1], v10, v7
	v_cndmask_b32_e64 v7, 0, 1, s[0:1]
	v_or_b32_e32 v7, v11, v7
	v_add_u32_e32 v11, 0xfffffc10, v9
	v_cvt_f32_f16_e32 v5, v5
	v_lshl_or_b32 v9, v11, 12, v0
	v_cmp_gt_i32_e64 s[0:1], 1, v11
	v_cndmask_b32_e64 v7, v9, v7, s[0:1]
	v_and_b32_e32 v9, 7, v7
	v_cmp_lt_i32_e64 s[0:1], 5, v9
	v_cmp_eq_u32_e64 s[2:3], 3, v9
	v_cvt_f64_f32_e32 v[9:10], v5
	v_lshrrev_b32_e32 v7, 2, v7
	s_or_b64 s[0:1], s[2:3], s[0:1]
	v_addc_co_u32_e64 v5, s[0:1], 0, v7, s[0:1]
	v_mul_f64 v[9:10], v[9:10], s[12:13]
	v_cmp_gt_i32_e64 s[0:1], 31, v11
	v_cndmask_b32_e64 v5, v2, v5, s[0:1]
	v_cmp_ne_u32_e64 s[0:1], 0, v0
	v_cndmask_b32_e64 v0, 0, 1, s[0:1]
	v_lshl_or_b32 v0, v0, 9, v2
	v_cmp_eq_u32_e64 s[0:1], s11, v11
	v_cndmask_b32_e64 v0, v5, v0, s[0:1]
	v_lshrrev_b32_e32 v5, 16, v8
	v_and_or_b32 v0, v5, s14, v0
	v_and_or_b32 v5, v10, s15, v9
	v_cmp_ne_u32_e64 s[0:1], 0, v5
	v_cndmask_b32_e64 v5, 0, 1, s[0:1]
	v_lshrrev_b32_e32 v7, 8, v10
	v_bfe_u32 v8, v10, 20, 11
	v_and_or_b32 v5, v7, s10, v5
	v_sub_u32_e32 v9, 0x3f1, v8
	v_or_b32_e32 v7, 0x1000, v5
	v_med3_i32 v9, v9, 0, 13
	v_lshrrev_b32_e32 v11, v9, v7
	v_lshlrev_b32_e32 v9, v9, v11
	v_cmp_ne_u32_e64 s[0:1], v9, v7
	v_cndmask_b32_e64 v7, 0, 1, s[0:1]
	v_add_u32_e32 v9, 0xfffffc10, v8
	v_or_b32_e32 v7, v11, v7
	v_lshl_or_b32 v8, v9, 12, v5
	v_cmp_gt_i32_e64 s[0:1], 1, v9
	v_cndmask_b32_e64 v7, v8, v7, s[0:1]
	v_and_b32_e32 v8, 7, v7
	v_cmp_lt_i32_e64 s[0:1], 5, v8
	v_cmp_eq_u32_e64 s[2:3], 3, v8
	v_lshrrev_b32_e32 v7, 2, v7
	s_or_b64 s[0:1], s[2:3], s[0:1]
	v_addc_co_u32_e64 v7, s[0:1], 0, v7, s[0:1]
	v_cmp_gt_i32_e64 s[0:1], 31, v9
	v_lshrrev_b32_e32 v12, 16, v6
	v_cndmask_b32_e64 v11, v2, v7, s[0:1]
	s_waitcnt vmcnt(1)
	v_mul_f16_sdwa v7, v13, v12 dst_sel:DWORD dst_unused:UNUSED_PAD src0_sel:WORD_1 src1_sel:DWORD
	v_fma_f16 v7, v13, v6, v7
	v_mul_f16_sdwa v6, v13, v6 dst_sel:DWORD dst_unused:UNUSED_PAD src0_sel:WORD_1 src1_sel:DWORD
	v_fma_f16 v6, v13, v12, -v6
	buffer_load_dword v13, off, s[52:55], 0 offset:8 ; 4-byte Folded Reload
	v_cvt_f32_f16_e32 v7, v7
	v_cmp_ne_u32_e64 s[0:1], 0, v5
	v_cndmask_b32_e64 v5, 0, 1, s[0:1]
	v_lshl_or_b32 v5, v5, 9, v2
	v_cvt_f64_f32_e32 v[7:8], v7
	v_cmp_eq_u32_e64 s[0:1], s11, v9
	v_cndmask_b32_e64 v5, v11, v5, s[0:1]
	v_lshrrev_b32_e32 v9, 16, v10
	v_mul_f64 v[7:8], v[7:8], s[12:13]
	v_and_or_b32 v5, v9, s14, v5
	v_and_b32_e32 v0, 0xffff, v0
	v_add_co_u32_e64 v3, s[0:1], s6, v3
	v_lshl_or_b32 v0, v5, 16, v0
	v_addc_co_u32_e64 v4, s[0:1], v4, v1, s[0:1]
	global_store_dword v[3:4], v0, off
	v_and_or_b32 v0, v8, s15, v7
	v_cmp_ne_u32_e64 s[0:1], 0, v0
	v_cndmask_b32_e64 v0, 0, 1, s[0:1]
	v_lshrrev_b32_e32 v5, 8, v8
	v_bfe_u32 v7, v8, 20, 11
	v_and_or_b32 v0, v5, s10, v0
	v_sub_u32_e32 v9, 0x3f1, v7
	v_or_b32_e32 v5, 0x1000, v0
	v_med3_i32 v9, v9, 0, 13
	v_lshrrev_b32_e32 v10, v9, v5
	v_lshlrev_b32_e32 v9, v9, v10
	v_cmp_ne_u32_e64 s[0:1], v9, v5
	v_cndmask_b32_e64 v5, 0, 1, s[0:1]
	v_add_u32_e32 v7, 0xfffffc10, v7
	v_cvt_f32_f16_e32 v6, v6
	v_or_b32_e32 v5, v10, v5
	v_lshl_or_b32 v9, v7, 12, v0
	v_cmp_gt_i32_e64 s[0:1], 1, v7
	v_cndmask_b32_e64 v5, v9, v5, s[0:1]
	v_and_b32_e32 v9, 7, v5
	v_cmp_lt_i32_e64 s[0:1], 5, v9
	v_cmp_eq_u32_e64 s[2:3], 3, v9
	v_lshrrev_b32_e32 v9, 2, v5
	v_cvt_f64_f32_e32 v[5:6], v6
	s_or_b64 s[0:1], s[2:3], s[0:1]
	v_addc_co_u32_e64 v9, s[0:1], 0, v9, s[0:1]
	v_mul_f64 v[5:6], v[5:6], s[12:13]
	v_cmp_gt_i32_e64 s[0:1], 31, v7
	v_cndmask_b32_e64 v9, v2, v9, s[0:1]
	v_cmp_ne_u32_e64 s[0:1], 0, v0
	v_cndmask_b32_e64 v0, 0, 1, s[0:1]
	v_lshl_or_b32 v0, v0, 9, v2
	v_cmp_eq_u32_e64 s[0:1], s11, v7
	v_cndmask_b32_e64 v0, v9, v0, s[0:1]
	v_and_or_b32 v5, v6, s15, v5
	v_lshrrev_b32_e32 v7, 16, v8
	v_cmp_ne_u32_e64 s[0:1], 0, v5
	v_and_or_b32 v0, v7, s14, v0
	v_cndmask_b32_e64 v5, 0, 1, s[0:1]
	v_lshrrev_b32_e32 v7, 8, v6
	v_bfe_u32 v8, v6, 20, 11
	v_and_or_b32 v5, v7, s10, v5
	v_sub_u32_e32 v9, 0x3f1, v8
	v_or_b32_e32 v7, 0x1000, v5
	v_med3_i32 v9, v9, 0, 13
	v_lshrrev_b32_e32 v10, v9, v7
	v_lshlrev_b32_e32 v9, v9, v10
	v_cmp_ne_u32_e64 s[0:1], v9, v7
	v_cndmask_b32_e64 v7, 0, 1, s[0:1]
	v_add_u32_e32 v9, 0xfffffc10, v8
	v_or_b32_e32 v7, v10, v7
	v_lshl_or_b32 v8, v9, 12, v5
	v_cmp_gt_i32_e64 s[0:1], 1, v9
	v_cndmask_b32_e64 v7, v8, v7, s[0:1]
	ds_read_b32 v10, v87 offset:5184
	v_and_b32_e32 v8, 7, v7
	v_cmp_lt_i32_e64 s[0:1], 5, v8
	v_cmp_eq_u32_e64 s[2:3], 3, v8
	v_lshrrev_b32_e32 v7, 2, v7
	s_or_b64 s[0:1], s[2:3], s[0:1]
	v_addc_co_u32_e64 v7, s[0:1], 0, v7, s[0:1]
	v_cmp_gt_i32_e64 s[0:1], 31, v9
	s_waitcnt lgkmcnt(0)
	v_lshrrev_b32_e32 v12, 16, v10
	v_cndmask_b32_e64 v11, v2, v7, s[0:1]
	s_waitcnt vmcnt(1)
	v_mul_f16_sdwa v7, v13, v12 dst_sel:DWORD dst_unused:UNUSED_PAD src0_sel:WORD_1 src1_sel:DWORD
	v_fma_f16 v7, v13, v10, v7
	v_cvt_f32_f16_e32 v7, v7
	v_cmp_ne_u32_e64 s[0:1], 0, v5
	v_cndmask_b32_e64 v5, 0, 1, s[0:1]
	v_lshl_or_b32 v5, v5, 9, v2
	v_cvt_f64_f32_e32 v[7:8], v7
	v_cmp_eq_u32_e64 s[0:1], s11, v9
	v_cndmask_b32_e64 v5, v11, v5, s[0:1]
	v_lshrrev_b32_e32 v6, 16, v6
	v_and_or_b32 v9, v6, s14, v5
	v_mul_f64 v[5:6], v[7:8], s[12:13]
	v_and_b32_e32 v0, 0xffff, v0
	v_add_co_u32_e64 v3, s[0:1], s6, v3
	v_lshl_or_b32 v0, v9, 16, v0
	v_addc_co_u32_e64 v4, s[0:1], v4, v1, s[0:1]
	global_store_dword v[3:4], v0, off
	v_and_or_b32 v0, v6, s15, v5
	v_cmp_ne_u32_e64 s[0:1], 0, v0
	v_cndmask_b32_e64 v0, 0, 1, s[0:1]
	v_lshrrev_b32_e32 v5, 8, v6
	v_bfe_u32 v7, v6, 20, 11
	v_and_or_b32 v0, v5, s10, v0
	v_sub_u32_e32 v8, 0x3f1, v7
	v_or_b32_e32 v5, 0x1000, v0
	v_med3_i32 v8, v8, 0, 13
	v_lshrrev_b32_e32 v9, v8, v5
	v_lshlrev_b32_e32 v8, v8, v9
	v_cmp_ne_u32_e64 s[0:1], v8, v5
	v_mul_f16_sdwa v8, v13, v10 dst_sel:DWORD dst_unused:UNUSED_PAD src0_sel:WORD_1 src1_sel:DWORD
	v_cndmask_b32_e64 v5, 0, 1, s[0:1]
	v_fma_f16 v8, v13, v12, -v8
	v_or_b32_e32 v5, v9, v5
	v_add_u32_e32 v9, 0xfffffc10, v7
	v_cvt_f32_f16_e32 v8, v8
	v_lshl_or_b32 v7, v9, 12, v0
	v_cmp_gt_i32_e64 s[0:1], 1, v9
	v_cndmask_b32_e64 v5, v7, v5, s[0:1]
	v_and_b32_e32 v7, 7, v5
	v_cmp_lt_i32_e64 s[0:1], 5, v7
	v_cmp_eq_u32_e64 s[2:3], 3, v7
	v_cvt_f64_f32_e32 v[7:8], v8
	v_lshrrev_b32_e32 v5, 2, v5
	s_or_b64 s[0:1], s[2:3], s[0:1]
	v_addc_co_u32_e64 v5, s[0:1], 0, v5, s[0:1]
	v_mul_f64 v[7:8], v[7:8], s[12:13]
	v_cmp_gt_i32_e64 s[0:1], 31, v9
	v_cndmask_b32_e64 v5, v2, v5, s[0:1]
	v_cmp_ne_u32_e64 s[0:1], 0, v0
	v_cndmask_b32_e64 v0, 0, 1, s[0:1]
	v_lshl_or_b32 v0, v0, 9, v2
	v_cmp_eq_u32_e64 s[0:1], s11, v9
	v_cndmask_b32_e64 v0, v5, v0, s[0:1]
	v_lshrrev_b32_e32 v5, 16, v6
	v_and_or_b32 v0, v5, s14, v0
	v_and_or_b32 v5, v8, s15, v7
	v_cmp_ne_u32_e64 s[0:1], 0, v5
	v_cndmask_b32_e64 v5, 0, 1, s[0:1]
	v_lshrrev_b32_e32 v6, 8, v8
	v_bfe_u32 v7, v8, 20, 11
	v_and_or_b32 v5, v6, s10, v5
	v_sub_u32_e32 v9, 0x3f1, v7
	v_or_b32_e32 v6, 0x1000, v5
	v_med3_i32 v9, v9, 0, 13
	v_lshrrev_b32_e32 v10, v9, v6
	v_lshlrev_b32_e32 v9, v9, v10
	v_cmp_ne_u32_e64 s[0:1], v9, v6
	v_cndmask_b32_e64 v6, 0, 1, s[0:1]
	v_add_u32_e32 v7, 0xfffffc10, v7
	v_or_b32_e32 v6, v10, v6
	v_lshl_or_b32 v9, v7, 12, v5
	v_cmp_gt_i32_e64 s[0:1], 1, v7
	v_cndmask_b32_e64 v6, v9, v6, s[0:1]
	v_and_b32_e32 v9, 7, v6
	v_cmp_lt_i32_e64 s[0:1], 5, v9
	v_cmp_eq_u32_e64 s[2:3], 3, v9
	v_lshrrev_b32_e32 v6, 2, v6
	s_or_b64 s[0:1], s[2:3], s[0:1]
	v_addc_co_u32_e64 v6, s[0:1], 0, v6, s[0:1]
	v_cmp_gt_i32_e64 s[0:1], 31, v7
	v_cndmask_b32_e64 v6, v2, v6, s[0:1]
	v_cmp_ne_u32_e64 s[0:1], 0, v5
	v_cndmask_b32_e64 v5, 0, 1, s[0:1]
	v_lshl_or_b32 v5, v5, 9, v2
	v_cmp_eq_u32_e64 s[0:1], s11, v7
	v_cndmask_b32_e64 v5, v6, v5, s[0:1]
	v_lshrrev_b32_e32 v6, 16, v8
	v_and_or_b32 v5, v6, s14, v5
	v_and_b32_e32 v0, 0xffff, v0
	v_lshl_or_b32 v5, v5, 16, v0
	v_add_co_u32_e64 v0, s[0:1], s6, v3
	v_addc_co_u32_e64 v1, s[0:1], v4, v1, s[0:1]
	global_store_dword v[0:1], v5, off
	s_and_b64 exec, exec, vcc
	s_cbranch_execz .LBB0_15
; %bb.14:
	global_load_dword v5, v[16:17], off offset:204
	ds_read2_b32 v[3:4], v87 offset0:51 offset1:132
	s_waitcnt lgkmcnt(0)
	v_lshrrev_b32_e32 v6, 16, v3
	s_waitcnt vmcnt(0)
	v_mul_f16_sdwa v7, v6, v5 dst_sel:DWORD dst_unused:UNUSED_PAD src0_sel:DWORD src1_sel:WORD_1
	v_fma_f16 v7, v3, v5, v7
	v_mul_f16_sdwa v3, v3, v5 dst_sel:DWORD dst_unused:UNUSED_PAD src0_sel:DWORD src1_sel:WORD_1
	v_cvt_f32_f16_e32 v7, v7
	v_fma_f16 v3, v5, v6, -v3
	v_cvt_f32_f16_e32 v3, v3
	v_cvt_f64_f32_e32 v[5:6], v7
	v_cvt_f64_f32_e32 v[7:8], v3
	v_mov_b32_e32 v3, 0xffffec8c
	v_mul_f64 v[5:6], v[5:6], s[12:13]
	v_mad_u64_u32 v[0:1], s[0:1], s8, v3, v[0:1]
	v_mul_f64 v[7:8], v[7:8], s[12:13]
	s_mul_i32 s0, s9, 0xffffec8c
	s_sub_i32 s0, s0, s8
	v_add_u32_e32 v1, s0, v1
	v_and_or_b32 v3, v6, s15, v5
	v_cmp_ne_u32_e32 vcc, 0, v3
	v_lshrrev_b32_e32 v5, 8, v6
	v_and_or_b32 v7, v8, s15, v7
	v_bfe_u32 v9, v6, 20, 11
	v_cndmask_b32_e64 v3, 0, 1, vcc
	v_cmp_ne_u32_e32 vcc, 0, v7
	v_lshrrev_b32_e32 v10, 8, v8
	v_bfe_u32 v11, v8, 20, 11
	v_sub_u32_e32 v12, 0x3f1, v9
	v_cndmask_b32_e64 v7, 0, 1, vcc
	v_and_or_b32 v3, v5, s10, v3
	v_sub_u32_e32 v13, 0x3f1, v11
	v_med3_i32 v5, v12, 0, 13
	v_and_or_b32 v7, v10, s10, v7
	v_or_b32_e32 v12, 0x1000, v3
	v_add_u32_e32 v9, 0xfffffc10, v9
	v_med3_i32 v10, v13, 0, 13
	v_cmp_ne_u32_e32 vcc, 0, v3
	v_or_b32_e32 v14, 0x1000, v7
	v_lshrrev_b32_e32 v18, v5, v12
	v_add_u32_e32 v11, 0xfffffc10, v11
	v_lshl_or_b32 v13, v9, 12, v3
	v_cndmask_b32_e64 v3, 0, 1, vcc
	v_cmp_ne_u32_e32 vcc, 0, v7
	v_lshrrev_b32_e32 v24, v10, v14
	v_lshlrev_b32_e32 v5, v5, v18
	v_lshl_or_b32 v15, v11, 12, v7
	v_cndmask_b32_e64 v7, 0, 1, vcc
	v_lshlrev_b32_e32 v10, v10, v24
	v_cmp_ne_u32_e32 vcc, v5, v12
	v_cndmask_b32_e64 v5, 0, 1, vcc
	v_cmp_ne_u32_e32 vcc, v10, v14
	v_cndmask_b32_e64 v10, 0, 1, vcc
	v_or_b32_e32 v5, v18, v5
	v_cmp_gt_i32_e32 vcc, 1, v9
	v_cndmask_b32_e32 v5, v13, v5, vcc
	v_or_b32_e32 v10, v24, v10
	v_cmp_gt_i32_e32 vcc, 1, v11
	v_and_b32_e32 v12, 7, v5
	v_cndmask_b32_e32 v10, v15, v10, vcc
	v_cmp_lt_i32_e32 vcc, 5, v12
	v_cmp_eq_u32_e64 s[0:1], 3, v12
	v_lshrrev_b32_e32 v5, 2, v5
	v_and_b32_e32 v13, 7, v10
	s_or_b64 vcc, s[0:1], vcc
	v_cmp_lt_i32_e64 s[2:3], 5, v13
	v_cmp_eq_u32_e64 s[4:5], 3, v13
	v_addc_co_u32_e32 v5, vcc, 0, v5, vcc
	v_lshrrev_b32_e32 v10, 2, v10
	s_or_b64 vcc, s[4:5], s[2:3]
	v_addc_co_u32_e32 v10, vcc, 0, v10, vcc
	v_cmp_gt_i32_e32 vcc, 31, v9
	v_cndmask_b32_e32 v5, v2, v5, vcc
	v_cmp_gt_i32_e32 vcc, 31, v11
	v_lshl_or_b32 v3, v3, 9, v2
	v_cndmask_b32_e32 v10, v2, v10, vcc
	v_cmp_eq_u32_e32 vcc, s11, v9
	v_lshrrev_b32_e32 v6, 16, v6
	v_lshl_or_b32 v7, v7, 9, v2
	v_cndmask_b32_e32 v3, v5, v3, vcc
	v_cmp_eq_u32_e32 vcc, s11, v11
	v_lshrrev_b32_e32 v8, 16, v8
	v_cndmask_b32_e32 v5, v10, v7, vcc
	v_and_or_b32 v3, v6, s14, v3
	v_and_or_b32 v5, v8, s14, v5
	v_and_b32_e32 v3, 0xffff, v3
	v_lshl_or_b32 v3, v5, 16, v3
	global_store_dword v[0:1], v3, off
	global_load_dword v3, v[16:17], off offset:528
	v_lshrrev_b32_e32 v5, 16, v4
	v_add_co_u32_e32 v0, vcc, s6, v0
	s_waitcnt vmcnt(0)
	v_mul_f16_sdwa v6, v5, v3 dst_sel:DWORD dst_unused:UNUSED_PAD src0_sel:DWORD src1_sel:WORD_1
	v_fma_f16 v6, v4, v3, v6
	v_mul_f16_sdwa v4, v4, v3 dst_sel:DWORD dst_unused:UNUSED_PAD src0_sel:DWORD src1_sel:WORD_1
	v_cvt_f32_f16_e32 v6, v6
	v_fma_f16 v3, v3, v5, -v4
	v_cvt_f32_f16_e32 v5, v3
	v_cvt_f64_f32_e32 v[3:4], v6
	v_cvt_f64_f32_e32 v[5:6], v5
	v_mul_f64 v[7:8], v[3:4], s[12:13]
	v_mov_b32_e32 v3, s7
	v_mul_f64 v[4:5], v[5:6], s[12:13]
	v_addc_co_u32_e32 v1, vcc, v1, v3, vcc
	v_and_or_b32 v6, v8, s15, v7
	v_cmp_ne_u32_e32 vcc, 0, v6
	v_and_or_b32 v4, v5, s15, v4
	v_lshrrev_b32_e32 v7, 8, v8
	v_bfe_u32 v9, v8, 20, 11
	v_cndmask_b32_e64 v6, 0, 1, vcc
	v_cmp_ne_u32_e32 vcc, 0, v4
	v_lshrrev_b32_e32 v10, 8, v5
	v_bfe_u32 v11, v5, 20, 11
	v_sub_u32_e32 v12, 0x3f1, v9
	v_cndmask_b32_e64 v4, 0, 1, vcc
	v_and_or_b32 v6, v7, s10, v6
	v_sub_u32_e32 v13, 0x3f1, v11
	v_med3_i32 v7, v12, 0, 13
	v_and_or_b32 v4, v10, s10, v4
	v_or_b32_e32 v12, 0x1000, v6
	v_add_u32_e32 v9, 0xfffffc10, v9
	v_med3_i32 v10, v13, 0, 13
	v_cmp_ne_u32_e32 vcc, 0, v6
	v_or_b32_e32 v14, 0x1000, v4
	v_lshrrev_b32_e32 v18, v7, v12
	v_add_u32_e32 v11, 0xfffffc10, v11
	v_lshl_or_b32 v13, v9, 12, v6
	v_cndmask_b32_e64 v6, 0, 1, vcc
	v_cmp_ne_u32_e32 vcc, 0, v4
	v_lshrrev_b32_e32 v24, v10, v14
	v_lshlrev_b32_e32 v7, v7, v18
	v_lshl_or_b32 v15, v11, 12, v4
	v_cndmask_b32_e64 v4, 0, 1, vcc
	v_lshlrev_b32_e32 v10, v10, v24
	v_cmp_ne_u32_e32 vcc, v7, v12
	v_cndmask_b32_e64 v7, 0, 1, vcc
	v_cmp_ne_u32_e32 vcc, v10, v14
	v_cndmask_b32_e64 v10, 0, 1, vcc
	v_or_b32_e32 v7, v18, v7
	v_cmp_gt_i32_e32 vcc, 1, v9
	v_cndmask_b32_e32 v7, v13, v7, vcc
	v_or_b32_e32 v10, v24, v10
	v_cmp_gt_i32_e32 vcc, 1, v11
	v_and_b32_e32 v12, 7, v7
	v_cndmask_b32_e32 v10, v15, v10, vcc
	v_cmp_lt_i32_e32 vcc, 5, v12
	v_cmp_eq_u32_e64 s[0:1], 3, v12
	v_lshrrev_b32_e32 v7, 2, v7
	v_and_b32_e32 v13, 7, v10
	s_or_b64 vcc, s[0:1], vcc
	v_cmp_lt_i32_e64 s[2:3], 5, v13
	v_cmp_eq_u32_e64 s[4:5], 3, v13
	v_addc_co_u32_e32 v7, vcc, 0, v7, vcc
	v_lshrrev_b32_e32 v10, 2, v10
	s_or_b64 vcc, s[4:5], s[2:3]
	v_addc_co_u32_e32 v10, vcc, 0, v10, vcc
	v_cmp_gt_i32_e32 vcc, 31, v9
	v_cndmask_b32_e32 v7, v2, v7, vcc
	v_cmp_gt_i32_e32 vcc, 31, v11
	v_lshl_or_b32 v6, v6, 9, v2
	v_cndmask_b32_e32 v10, v2, v10, vcc
	v_cmp_eq_u32_e32 vcc, s11, v9
	v_lshrrev_b32_e32 v8, 16, v8
	v_lshl_or_b32 v4, v4, 9, v2
	v_cndmask_b32_e32 v6, v7, v6, vcc
	v_cmp_eq_u32_e32 vcc, s11, v11
	v_lshrrev_b32_e32 v5, 16, v5
	v_cndmask_b32_e32 v4, v10, v4, vcc
	v_and_or_b32 v6, v8, s14, v6
	v_and_or_b32 v4, v5, s14, v4
	v_and_b32_e32 v5, 0xffff, v6
	v_lshl_or_b32 v4, v4, 16, v5
	global_store_dword v[0:1], v4, off
	global_load_dword v6, v[16:17], off offset:852
	v_add_u32_e32 v4, 0x200, v87
	ds_read2_b32 v[4:5], v4 offset0:85 offset1:166
	v_add_co_u32_e32 v0, vcc, s6, v0
	v_addc_co_u32_e32 v1, vcc, v1, v3, vcc
	s_waitcnt lgkmcnt(0)
	v_lshrrev_b32_e32 v7, 16, v4
	s_waitcnt vmcnt(0)
	v_mul_f16_sdwa v8, v7, v6 dst_sel:DWORD dst_unused:UNUSED_PAD src0_sel:DWORD src1_sel:WORD_1
	v_fma_f16 v8, v4, v6, v8
	v_mul_f16_sdwa v4, v4, v6 dst_sel:DWORD dst_unused:UNUSED_PAD src0_sel:DWORD src1_sel:WORD_1
	v_cvt_f32_f16_e32 v8, v8
	v_fma_f16 v4, v6, v7, -v4
	v_cvt_f32_f16_e32 v4, v4
	v_cvt_f64_f32_e32 v[6:7], v8
	v_cvt_f64_f32_e32 v[8:9], v4
	v_mul_f64 v[6:7], v[6:7], s[12:13]
	v_mul_f64 v[8:9], v[8:9], s[12:13]
	v_and_or_b32 v4, v7, s15, v6
	v_cmp_ne_u32_e32 vcc, 0, v4
	v_and_or_b32 v8, v9, s15, v8
	v_lshrrev_b32_e32 v6, 8, v7
	v_bfe_u32 v10, v7, 20, 11
	v_cndmask_b32_e64 v4, 0, 1, vcc
	v_cmp_ne_u32_e32 vcc, 0, v8
	v_lshrrev_b32_e32 v11, 8, v9
	v_bfe_u32 v12, v9, 20, 11
	v_sub_u32_e32 v13, 0x3f1, v10
	v_cndmask_b32_e64 v8, 0, 1, vcc
	v_and_or_b32 v4, v6, s10, v4
	v_sub_u32_e32 v14, 0x3f1, v12
	v_med3_i32 v6, v13, 0, 13
	v_and_or_b32 v8, v11, s10, v8
	v_or_b32_e32 v13, 0x1000, v4
	v_add_u32_e32 v10, 0xfffffc10, v10
	v_med3_i32 v11, v14, 0, 13
	v_cmp_ne_u32_e32 vcc, 0, v4
	v_or_b32_e32 v15, 0x1000, v8
	v_lshrrev_b32_e32 v24, v6, v13
	v_add_u32_e32 v12, 0xfffffc10, v12
	v_lshl_or_b32 v14, v10, 12, v4
	v_cndmask_b32_e64 v4, 0, 1, vcc
	v_cmp_ne_u32_e32 vcc, 0, v8
	v_lshrrev_b32_e32 v25, v11, v15
	v_lshlrev_b32_e32 v6, v6, v24
	v_lshl_or_b32 v18, v12, 12, v8
	v_cndmask_b32_e64 v8, 0, 1, vcc
	v_lshlrev_b32_e32 v11, v11, v25
	v_cmp_ne_u32_e32 vcc, v6, v13
	v_cndmask_b32_e64 v6, 0, 1, vcc
	v_cmp_ne_u32_e32 vcc, v11, v15
	v_cndmask_b32_e64 v11, 0, 1, vcc
	v_or_b32_e32 v6, v24, v6
	v_cmp_gt_i32_e32 vcc, 1, v10
	v_cndmask_b32_e32 v6, v14, v6, vcc
	v_or_b32_e32 v11, v25, v11
	v_cmp_gt_i32_e32 vcc, 1, v12
	v_and_b32_e32 v13, 7, v6
	v_cndmask_b32_e32 v11, v18, v11, vcc
	v_cmp_lt_i32_e32 vcc, 5, v13
	v_cmp_eq_u32_e64 s[0:1], 3, v13
	v_lshrrev_b32_e32 v6, 2, v6
	v_and_b32_e32 v14, 7, v11
	s_or_b64 vcc, s[0:1], vcc
	v_cmp_lt_i32_e64 s[2:3], 5, v14
	v_cmp_eq_u32_e64 s[4:5], 3, v14
	v_addc_co_u32_e32 v6, vcc, 0, v6, vcc
	v_lshrrev_b32_e32 v11, 2, v11
	s_or_b64 vcc, s[4:5], s[2:3]
	v_addc_co_u32_e32 v11, vcc, 0, v11, vcc
	v_cmp_gt_i32_e32 vcc, 31, v10
	v_cndmask_b32_e32 v6, v2, v6, vcc
	v_cmp_gt_i32_e32 vcc, 31, v12
	v_lshl_or_b32 v4, v4, 9, v2
	v_cndmask_b32_e32 v11, v2, v11, vcc
	v_cmp_eq_u32_e32 vcc, s11, v10
	v_lshrrev_b32_e32 v7, 16, v7
	v_lshl_or_b32 v8, v8, 9, v2
	v_cndmask_b32_e32 v4, v6, v4, vcc
	v_cmp_eq_u32_e32 vcc, s11, v12
	v_lshrrev_b32_e32 v9, 16, v9
	v_cndmask_b32_e32 v6, v11, v8, vcc
	v_and_or_b32 v4, v7, s14, v4
	v_and_or_b32 v6, v9, s14, v6
	v_and_b32_e32 v4, 0xffff, v4
	v_lshl_or_b32 v4, v6, 16, v4
	global_store_dword v[0:1], v4, off
	global_load_dword v4, v[16:17], off offset:1176
	v_lshrrev_b32_e32 v6, 16, v5
	v_add_co_u32_e32 v0, vcc, s6, v0
	v_addc_co_u32_e32 v1, vcc, v1, v3, vcc
	s_waitcnt vmcnt(0)
	v_mul_f16_sdwa v7, v6, v4 dst_sel:DWORD dst_unused:UNUSED_PAD src0_sel:DWORD src1_sel:WORD_1
	v_fma_f16 v7, v5, v4, v7
	v_mul_f16_sdwa v5, v5, v4 dst_sel:DWORD dst_unused:UNUSED_PAD src0_sel:DWORD src1_sel:WORD_1
	v_cvt_f32_f16_e32 v7, v7
	v_fma_f16 v4, v4, v6, -v5
	v_cvt_f32_f16_e32 v6, v4
	v_cvt_f64_f32_e32 v[4:5], v7
	v_cvt_f64_f32_e32 v[6:7], v6
	v_mul_f64 v[4:5], v[4:5], s[12:13]
	v_mul_f64 v[6:7], v[6:7], s[12:13]
	v_and_or_b32 v4, v5, s15, v4
	v_cmp_ne_u32_e32 vcc, 0, v4
	v_and_or_b32 v6, v7, s15, v6
	v_lshrrev_b32_e32 v8, 8, v5
	v_bfe_u32 v9, v5, 20, 11
	v_cndmask_b32_e64 v4, 0, 1, vcc
	v_cmp_ne_u32_e32 vcc, 0, v6
	v_lshrrev_b32_e32 v10, 8, v7
	v_bfe_u32 v11, v7, 20, 11
	v_sub_u32_e32 v12, 0x3f1, v9
	v_cndmask_b32_e64 v6, 0, 1, vcc
	v_and_or_b32 v4, v8, s10, v4
	v_sub_u32_e32 v13, 0x3f1, v11
	v_med3_i32 v8, v12, 0, 13
	v_and_or_b32 v6, v10, s10, v6
	v_or_b32_e32 v12, 0x1000, v4
	v_add_u32_e32 v9, 0xfffffc10, v9
	v_med3_i32 v10, v13, 0, 13
	v_cmp_ne_u32_e32 vcc, 0, v4
	v_or_b32_e32 v14, 0x1000, v6
	v_lshrrev_b32_e32 v18, v8, v12
	v_add_u32_e32 v11, 0xfffffc10, v11
	v_lshl_or_b32 v13, v9, 12, v4
	v_cndmask_b32_e64 v4, 0, 1, vcc
	v_cmp_ne_u32_e32 vcc, 0, v6
	v_lshrrev_b32_e32 v24, v10, v14
	v_lshlrev_b32_e32 v8, v8, v18
	v_lshl_or_b32 v15, v11, 12, v6
	v_cndmask_b32_e64 v6, 0, 1, vcc
	v_lshlrev_b32_e32 v10, v10, v24
	v_cmp_ne_u32_e32 vcc, v8, v12
	v_cndmask_b32_e64 v8, 0, 1, vcc
	v_cmp_ne_u32_e32 vcc, v10, v14
	v_cndmask_b32_e64 v10, 0, 1, vcc
	v_or_b32_e32 v8, v18, v8
	v_cmp_gt_i32_e32 vcc, 1, v9
	v_cndmask_b32_e32 v8, v13, v8, vcc
	v_or_b32_e32 v10, v24, v10
	v_cmp_gt_i32_e32 vcc, 1, v11
	v_and_b32_e32 v12, 7, v8
	v_cndmask_b32_e32 v10, v15, v10, vcc
	v_cmp_lt_i32_e32 vcc, 5, v12
	v_cmp_eq_u32_e64 s[0:1], 3, v12
	v_lshrrev_b32_e32 v8, 2, v8
	v_and_b32_e32 v13, 7, v10
	s_or_b64 vcc, s[0:1], vcc
	v_cmp_lt_i32_e64 s[2:3], 5, v13
	v_cmp_eq_u32_e64 s[4:5], 3, v13
	v_addc_co_u32_e32 v8, vcc, 0, v8, vcc
	v_lshrrev_b32_e32 v10, 2, v10
	s_or_b64 vcc, s[4:5], s[2:3]
	v_addc_co_u32_e32 v10, vcc, 0, v10, vcc
	v_cmp_gt_i32_e32 vcc, 31, v9
	v_cndmask_b32_e32 v8, v2, v8, vcc
	v_cmp_gt_i32_e32 vcc, 31, v11
	v_lshl_or_b32 v4, v4, 9, v2
	v_cndmask_b32_e32 v10, v2, v10, vcc
	v_cmp_eq_u32_e32 vcc, s11, v9
	v_lshrrev_b32_e32 v5, 16, v5
	v_lshl_or_b32 v6, v6, 9, v2
	v_cndmask_b32_e32 v4, v8, v4, vcc
	v_cmp_eq_u32_e32 vcc, s11, v11
	v_lshrrev_b32_e32 v7, 16, v7
	v_cndmask_b32_e32 v6, v10, v6, vcc
	v_and_or_b32 v4, v5, s14, v4
	v_and_or_b32 v5, v7, s14, v6
	v_and_b32_e32 v4, 0xffff, v4
	v_lshl_or_b32 v4, v5, 16, v4
	global_store_dword v[0:1], v4, off
	global_load_dword v6, v[16:17], off offset:1500
	ds_read2_b32 v[4:5], v23 offset0:119 offset1:200
	v_add_co_u32_e32 v0, vcc, s6, v0
	v_addc_co_u32_e32 v1, vcc, v1, v3, vcc
	s_waitcnt lgkmcnt(0)
	v_lshrrev_b32_e32 v7, 16, v4
	s_waitcnt vmcnt(0)
	v_mul_f16_sdwa v8, v7, v6 dst_sel:DWORD dst_unused:UNUSED_PAD src0_sel:DWORD src1_sel:WORD_1
	v_fma_f16 v8, v4, v6, v8
	v_mul_f16_sdwa v4, v4, v6 dst_sel:DWORD dst_unused:UNUSED_PAD src0_sel:DWORD src1_sel:WORD_1
	v_cvt_f32_f16_e32 v8, v8
	v_fma_f16 v4, v6, v7, -v4
	v_cvt_f32_f16_e32 v4, v4
	v_cvt_f64_f32_e32 v[6:7], v8
	v_cvt_f64_f32_e32 v[8:9], v4
	v_mul_f64 v[6:7], v[6:7], s[12:13]
	v_mul_f64 v[8:9], v[8:9], s[12:13]
	v_and_or_b32 v4, v7, s15, v6
	v_cmp_ne_u32_e32 vcc, 0, v4
	v_and_or_b32 v8, v9, s15, v8
	v_lshrrev_b32_e32 v6, 8, v7
	v_bfe_u32 v10, v7, 20, 11
	v_cndmask_b32_e64 v4, 0, 1, vcc
	v_cmp_ne_u32_e32 vcc, 0, v8
	v_lshrrev_b32_e32 v11, 8, v9
	v_bfe_u32 v12, v9, 20, 11
	v_sub_u32_e32 v13, 0x3f1, v10
	v_cndmask_b32_e64 v8, 0, 1, vcc
	v_and_or_b32 v4, v6, s10, v4
	v_sub_u32_e32 v14, 0x3f1, v12
	v_med3_i32 v6, v13, 0, 13
	v_and_or_b32 v8, v11, s10, v8
	v_or_b32_e32 v13, 0x1000, v4
	v_add_u32_e32 v10, 0xfffffc10, v10
	v_med3_i32 v11, v14, 0, 13
	v_cmp_ne_u32_e32 vcc, 0, v4
	v_or_b32_e32 v15, 0x1000, v8
	v_lshrrev_b32_e32 v23, v6, v13
	v_add_u32_e32 v12, 0xfffffc10, v12
	v_lshl_or_b32 v14, v10, 12, v4
	v_cndmask_b32_e64 v4, 0, 1, vcc
	v_cmp_ne_u32_e32 vcc, 0, v8
	v_lshrrev_b32_e32 v24, v11, v15
	v_lshlrev_b32_e32 v6, v6, v23
	v_lshl_or_b32 v18, v12, 12, v8
	v_cndmask_b32_e64 v8, 0, 1, vcc
	v_lshlrev_b32_e32 v11, v11, v24
	v_cmp_ne_u32_e32 vcc, v6, v13
	v_cndmask_b32_e64 v6, 0, 1, vcc
	v_cmp_ne_u32_e32 vcc, v11, v15
	v_cndmask_b32_e64 v11, 0, 1, vcc
	v_or_b32_e32 v6, v23, v6
	v_cmp_gt_i32_e32 vcc, 1, v10
	v_cndmask_b32_e32 v6, v14, v6, vcc
	v_or_b32_e32 v11, v24, v11
	v_cmp_gt_i32_e32 vcc, 1, v12
	v_and_b32_e32 v13, 7, v6
	v_cndmask_b32_e32 v11, v18, v11, vcc
	v_cmp_lt_i32_e32 vcc, 5, v13
	v_cmp_eq_u32_e64 s[0:1], 3, v13
	v_lshrrev_b32_e32 v6, 2, v6
	v_and_b32_e32 v14, 7, v11
	s_or_b64 vcc, s[0:1], vcc
	v_cmp_lt_i32_e64 s[2:3], 5, v14
	v_cmp_eq_u32_e64 s[4:5], 3, v14
	v_addc_co_u32_e32 v6, vcc, 0, v6, vcc
	v_lshrrev_b32_e32 v11, 2, v11
	s_or_b64 vcc, s[4:5], s[2:3]
	v_addc_co_u32_e32 v11, vcc, 0, v11, vcc
	v_cmp_gt_i32_e32 vcc, 31, v10
	v_cndmask_b32_e32 v6, v2, v6, vcc
	v_cmp_gt_i32_e32 vcc, 31, v12
	v_lshl_or_b32 v4, v4, 9, v2
	v_cndmask_b32_e32 v11, v2, v11, vcc
	v_cmp_eq_u32_e32 vcc, s11, v10
	v_lshrrev_b32_e32 v7, 16, v7
	v_lshl_or_b32 v8, v8, 9, v2
	v_cndmask_b32_e32 v4, v6, v4, vcc
	v_cmp_eq_u32_e32 vcc, s11, v12
	v_lshrrev_b32_e32 v9, 16, v9
	v_cndmask_b32_e32 v6, v11, v8, vcc
	v_and_or_b32 v4, v7, s14, v4
	v_and_or_b32 v6, v9, s14, v6
	v_and_b32_e32 v4, 0xffff, v4
	v_lshl_or_b32 v4, v6, 16, v4
	global_store_dword v[0:1], v4, off
	global_load_dword v4, v[16:17], off offset:1824
	v_lshrrev_b32_e32 v6, 16, v5
	v_add_co_u32_e32 v0, vcc, s6, v0
	v_addc_co_u32_e32 v1, vcc, v1, v3, vcc
	s_waitcnt vmcnt(0)
	v_mul_f16_sdwa v7, v6, v4 dst_sel:DWORD dst_unused:UNUSED_PAD src0_sel:DWORD src1_sel:WORD_1
	v_fma_f16 v7, v5, v4, v7
	v_mul_f16_sdwa v5, v5, v4 dst_sel:DWORD dst_unused:UNUSED_PAD src0_sel:DWORD src1_sel:WORD_1
	v_cvt_f32_f16_e32 v7, v7
	v_fma_f16 v4, v4, v6, -v5
	v_cvt_f32_f16_e32 v6, v4
	v_cvt_f64_f32_e32 v[4:5], v7
	v_cvt_f64_f32_e32 v[6:7], v6
	v_mul_f64 v[4:5], v[4:5], s[12:13]
	v_mul_f64 v[6:7], v[6:7], s[12:13]
	v_and_or_b32 v4, v5, s15, v4
	v_cmp_ne_u32_e32 vcc, 0, v4
	v_and_or_b32 v6, v7, s15, v6
	v_lshrrev_b32_e32 v8, 8, v5
	v_bfe_u32 v9, v5, 20, 11
	v_cndmask_b32_e64 v4, 0, 1, vcc
	v_cmp_ne_u32_e32 vcc, 0, v6
	v_lshrrev_b32_e32 v10, 8, v7
	v_bfe_u32 v11, v7, 20, 11
	v_sub_u32_e32 v12, 0x3f1, v9
	v_cndmask_b32_e64 v6, 0, 1, vcc
	v_and_or_b32 v4, v8, s10, v4
	v_sub_u32_e32 v13, 0x3f1, v11
	v_med3_i32 v8, v12, 0, 13
	v_and_or_b32 v6, v10, s10, v6
	v_or_b32_e32 v12, 0x1000, v4
	v_add_u32_e32 v9, 0xfffffc10, v9
	v_med3_i32 v10, v13, 0, 13
	v_cmp_ne_u32_e32 vcc, 0, v4
	v_or_b32_e32 v14, 0x1000, v6
	v_lshrrev_b32_e32 v18, v8, v12
	v_add_u32_e32 v11, 0xfffffc10, v11
	v_lshl_or_b32 v13, v9, 12, v4
	v_cndmask_b32_e64 v4, 0, 1, vcc
	v_cmp_ne_u32_e32 vcc, 0, v6
	v_lshrrev_b32_e32 v23, v10, v14
	v_lshlrev_b32_e32 v8, v8, v18
	v_lshl_or_b32 v15, v11, 12, v6
	v_cndmask_b32_e64 v6, 0, 1, vcc
	v_lshlrev_b32_e32 v10, v10, v23
	v_cmp_ne_u32_e32 vcc, v8, v12
	v_cndmask_b32_e64 v8, 0, 1, vcc
	v_cmp_ne_u32_e32 vcc, v10, v14
	v_cndmask_b32_e64 v10, 0, 1, vcc
	v_or_b32_e32 v8, v18, v8
	v_cmp_gt_i32_e32 vcc, 1, v9
	v_cndmask_b32_e32 v8, v13, v8, vcc
	v_or_b32_e32 v10, v23, v10
	v_cmp_gt_i32_e32 vcc, 1, v11
	v_and_b32_e32 v12, 7, v8
	v_cndmask_b32_e32 v10, v15, v10, vcc
	v_cmp_lt_i32_e32 vcc, 5, v12
	v_cmp_eq_u32_e64 s[0:1], 3, v12
	v_lshrrev_b32_e32 v8, 2, v8
	v_and_b32_e32 v13, 7, v10
	s_or_b64 vcc, s[0:1], vcc
	v_cmp_lt_i32_e64 s[2:3], 5, v13
	v_cmp_eq_u32_e64 s[4:5], 3, v13
	v_addc_co_u32_e32 v8, vcc, 0, v8, vcc
	v_lshrrev_b32_e32 v10, 2, v10
	s_or_b64 vcc, s[4:5], s[2:3]
	v_addc_co_u32_e32 v10, vcc, 0, v10, vcc
	v_cmp_gt_i32_e32 vcc, 31, v9
	v_cndmask_b32_e32 v8, v2, v8, vcc
	v_cmp_gt_i32_e32 vcc, 31, v11
	v_lshl_or_b32 v4, v4, 9, v2
	v_cndmask_b32_e32 v10, v2, v10, vcc
	v_cmp_eq_u32_e32 vcc, s11, v9
	v_lshrrev_b32_e32 v5, 16, v5
	v_lshl_or_b32 v6, v6, 9, v2
	v_cndmask_b32_e32 v4, v8, v4, vcc
	v_cmp_eq_u32_e32 vcc, s11, v11
	v_lshrrev_b32_e32 v7, 16, v7
	v_cndmask_b32_e32 v6, v10, v6, vcc
	v_and_or_b32 v4, v5, s14, v4
	v_and_or_b32 v5, v7, s14, v6
	v_and_b32_e32 v4, 0xffff, v4
	v_lshl_or_b32 v4, v5, 16, v4
	global_store_dword v[0:1], v4, off
	global_load_dword v6, v[16:17], off offset:2148
	ds_read2_b32 v[4:5], v22 offset0:25 offset1:106
	v_add_co_u32_e32 v0, vcc, s6, v0
	v_addc_co_u32_e32 v1, vcc, v1, v3, vcc
	s_waitcnt lgkmcnt(0)
	v_lshrrev_b32_e32 v7, 16, v4
	s_waitcnt vmcnt(0)
	v_mul_f16_sdwa v8, v7, v6 dst_sel:DWORD dst_unused:UNUSED_PAD src0_sel:DWORD src1_sel:WORD_1
	v_fma_f16 v8, v4, v6, v8
	v_mul_f16_sdwa v4, v4, v6 dst_sel:DWORD dst_unused:UNUSED_PAD src0_sel:DWORD src1_sel:WORD_1
	v_cvt_f32_f16_e32 v8, v8
	v_fma_f16 v4, v6, v7, -v4
	v_cvt_f32_f16_e32 v4, v4
	v_cvt_f64_f32_e32 v[6:7], v8
	v_cvt_f64_f32_e32 v[8:9], v4
	v_mul_f64 v[6:7], v[6:7], s[12:13]
	v_mul_f64 v[8:9], v[8:9], s[12:13]
	v_and_or_b32 v4, v7, s15, v6
	v_cmp_ne_u32_e32 vcc, 0, v4
	v_and_or_b32 v8, v9, s15, v8
	v_lshrrev_b32_e32 v6, 8, v7
	v_bfe_u32 v10, v7, 20, 11
	v_cndmask_b32_e64 v4, 0, 1, vcc
	v_cmp_ne_u32_e32 vcc, 0, v8
	v_lshrrev_b32_e32 v11, 8, v9
	v_bfe_u32 v12, v9, 20, 11
	v_sub_u32_e32 v13, 0x3f1, v10
	v_cndmask_b32_e64 v8, 0, 1, vcc
	v_and_or_b32 v4, v6, s10, v4
	v_sub_u32_e32 v14, 0x3f1, v12
	v_med3_i32 v6, v13, 0, 13
	v_and_or_b32 v8, v11, s10, v8
	v_or_b32_e32 v13, 0x1000, v4
	v_add_u32_e32 v10, 0xfffffc10, v10
	v_med3_i32 v11, v14, 0, 13
	v_cmp_ne_u32_e32 vcc, 0, v4
	v_or_b32_e32 v15, 0x1000, v8
	v_lshrrev_b32_e32 v22, v6, v13
	v_add_u32_e32 v12, 0xfffffc10, v12
	v_lshl_or_b32 v14, v10, 12, v4
	v_cndmask_b32_e64 v4, 0, 1, vcc
	v_cmp_ne_u32_e32 vcc, 0, v8
	v_lshrrev_b32_e32 v23, v11, v15
	v_lshlrev_b32_e32 v6, v6, v22
	v_lshl_or_b32 v18, v12, 12, v8
	v_cndmask_b32_e64 v8, 0, 1, vcc
	v_lshlrev_b32_e32 v11, v11, v23
	v_cmp_ne_u32_e32 vcc, v6, v13
	v_cndmask_b32_e64 v6, 0, 1, vcc
	v_cmp_ne_u32_e32 vcc, v11, v15
	v_cndmask_b32_e64 v11, 0, 1, vcc
	v_or_b32_e32 v6, v22, v6
	v_cmp_gt_i32_e32 vcc, 1, v10
	v_cndmask_b32_e32 v6, v14, v6, vcc
	v_or_b32_e32 v11, v23, v11
	v_cmp_gt_i32_e32 vcc, 1, v12
	v_and_b32_e32 v13, 7, v6
	v_cndmask_b32_e32 v11, v18, v11, vcc
	v_cmp_lt_i32_e32 vcc, 5, v13
	v_cmp_eq_u32_e64 s[0:1], 3, v13
	v_lshrrev_b32_e32 v6, 2, v6
	v_and_b32_e32 v14, 7, v11
	s_or_b64 vcc, s[0:1], vcc
	v_cmp_lt_i32_e64 s[2:3], 5, v14
	v_cmp_eq_u32_e64 s[4:5], 3, v14
	v_addc_co_u32_e32 v6, vcc, 0, v6, vcc
	v_lshrrev_b32_e32 v11, 2, v11
	s_or_b64 vcc, s[4:5], s[2:3]
	v_addc_co_u32_e32 v11, vcc, 0, v11, vcc
	v_cmp_gt_i32_e32 vcc, 31, v10
	v_cndmask_b32_e32 v6, v2, v6, vcc
	v_cmp_gt_i32_e32 vcc, 31, v12
	v_lshl_or_b32 v4, v4, 9, v2
	v_cndmask_b32_e32 v11, v2, v11, vcc
	v_cmp_eq_u32_e32 vcc, s11, v10
	v_lshrrev_b32_e32 v7, 16, v7
	v_lshl_or_b32 v8, v8, 9, v2
	v_cndmask_b32_e32 v4, v6, v4, vcc
	v_cmp_eq_u32_e32 vcc, s11, v12
	v_lshrrev_b32_e32 v9, 16, v9
	v_cndmask_b32_e32 v6, v11, v8, vcc
	v_and_or_b32 v4, v7, s14, v4
	v_and_or_b32 v6, v9, s14, v6
	v_and_b32_e32 v4, 0xffff, v4
	v_lshl_or_b32 v4, v6, 16, v4
	global_store_dword v[0:1], v4, off
	global_load_dword v4, v[16:17], off offset:2472
	v_lshrrev_b32_e32 v6, 16, v5
	v_add_co_u32_e32 v0, vcc, s6, v0
	v_addc_co_u32_e32 v1, vcc, v1, v3, vcc
	s_waitcnt vmcnt(0)
	v_mul_f16_sdwa v7, v6, v4 dst_sel:DWORD dst_unused:UNUSED_PAD src0_sel:DWORD src1_sel:WORD_1
	v_fma_f16 v7, v5, v4, v7
	v_mul_f16_sdwa v5, v5, v4 dst_sel:DWORD dst_unused:UNUSED_PAD src0_sel:DWORD src1_sel:WORD_1
	v_cvt_f32_f16_e32 v7, v7
	v_fma_f16 v4, v4, v6, -v5
	v_cvt_f32_f16_e32 v6, v4
	v_cvt_f64_f32_e32 v[4:5], v7
	v_cvt_f64_f32_e32 v[6:7], v6
	v_mul_f64 v[4:5], v[4:5], s[12:13]
	v_mul_f64 v[6:7], v[6:7], s[12:13]
	v_and_or_b32 v4, v5, s15, v4
	v_cmp_ne_u32_e32 vcc, 0, v4
	v_and_or_b32 v6, v7, s15, v6
	v_lshrrev_b32_e32 v8, 8, v5
	v_bfe_u32 v9, v5, 20, 11
	v_cndmask_b32_e64 v4, 0, 1, vcc
	v_cmp_ne_u32_e32 vcc, 0, v6
	v_lshrrev_b32_e32 v10, 8, v7
	v_bfe_u32 v11, v7, 20, 11
	v_sub_u32_e32 v12, 0x3f1, v9
	v_cndmask_b32_e64 v6, 0, 1, vcc
	v_and_or_b32 v4, v8, s10, v4
	v_sub_u32_e32 v13, 0x3f1, v11
	v_med3_i32 v8, v12, 0, 13
	v_and_or_b32 v6, v10, s10, v6
	v_or_b32_e32 v12, 0x1000, v4
	v_add_u32_e32 v9, 0xfffffc10, v9
	v_med3_i32 v10, v13, 0, 13
	v_cmp_ne_u32_e32 vcc, 0, v4
	v_or_b32_e32 v14, 0x1000, v6
	v_lshrrev_b32_e32 v18, v8, v12
	v_add_u32_e32 v11, 0xfffffc10, v11
	v_lshl_or_b32 v13, v9, 12, v4
	v_cndmask_b32_e64 v4, 0, 1, vcc
	v_cmp_ne_u32_e32 vcc, 0, v6
	v_lshrrev_b32_e32 v22, v10, v14
	v_lshlrev_b32_e32 v8, v8, v18
	v_lshl_or_b32 v15, v11, 12, v6
	v_cndmask_b32_e64 v6, 0, 1, vcc
	v_lshlrev_b32_e32 v10, v10, v22
	v_cmp_ne_u32_e32 vcc, v8, v12
	v_cndmask_b32_e64 v8, 0, 1, vcc
	v_cmp_ne_u32_e32 vcc, v10, v14
	v_cndmask_b32_e64 v10, 0, 1, vcc
	v_or_b32_e32 v8, v18, v8
	v_cmp_gt_i32_e32 vcc, 1, v9
	v_cndmask_b32_e32 v8, v13, v8, vcc
	v_or_b32_e32 v10, v22, v10
	v_cmp_gt_i32_e32 vcc, 1, v11
	v_and_b32_e32 v12, 7, v8
	v_cndmask_b32_e32 v10, v15, v10, vcc
	v_cmp_lt_i32_e32 vcc, 5, v12
	v_cmp_eq_u32_e64 s[0:1], 3, v12
	v_lshrrev_b32_e32 v8, 2, v8
	v_and_b32_e32 v13, 7, v10
	s_or_b64 vcc, s[0:1], vcc
	v_cmp_lt_i32_e64 s[2:3], 5, v13
	v_cmp_eq_u32_e64 s[4:5], 3, v13
	v_addc_co_u32_e32 v8, vcc, 0, v8, vcc
	v_lshrrev_b32_e32 v10, 2, v10
	s_or_b64 vcc, s[4:5], s[2:3]
	v_addc_co_u32_e32 v10, vcc, 0, v10, vcc
	v_cmp_gt_i32_e32 vcc, 31, v9
	v_cndmask_b32_e32 v8, v2, v8, vcc
	v_cmp_gt_i32_e32 vcc, 31, v11
	v_lshl_or_b32 v4, v4, 9, v2
	v_cndmask_b32_e32 v10, v2, v10, vcc
	v_cmp_eq_u32_e32 vcc, s11, v9
	v_lshrrev_b32_e32 v5, 16, v5
	v_lshl_or_b32 v6, v6, 9, v2
	v_cndmask_b32_e32 v4, v8, v4, vcc
	v_cmp_eq_u32_e32 vcc, s11, v11
	v_lshrrev_b32_e32 v7, 16, v7
	v_cndmask_b32_e32 v6, v10, v6, vcc
	v_and_or_b32 v4, v5, s14, v4
	v_and_or_b32 v5, v7, s14, v6
	v_and_b32_e32 v4, 0xffff, v4
	v_lshl_or_b32 v4, v5, 16, v4
	global_store_dword v[0:1], v4, off
	global_load_dword v6, v[16:17], off offset:2796
	v_add_u32_e32 v4, 0xa00, v87
	ds_read2_b32 v[4:5], v4 offset0:59 offset1:140
	v_add_co_u32_e32 v0, vcc, s6, v0
	v_addc_co_u32_e32 v1, vcc, v1, v3, vcc
	s_waitcnt lgkmcnt(0)
	v_lshrrev_b32_e32 v7, 16, v4
	s_waitcnt vmcnt(0)
	v_mul_f16_sdwa v8, v7, v6 dst_sel:DWORD dst_unused:UNUSED_PAD src0_sel:DWORD src1_sel:WORD_1
	v_fma_f16 v8, v4, v6, v8
	v_mul_f16_sdwa v4, v4, v6 dst_sel:DWORD dst_unused:UNUSED_PAD src0_sel:DWORD src1_sel:WORD_1
	v_cvt_f32_f16_e32 v8, v8
	v_fma_f16 v4, v6, v7, -v4
	v_cvt_f32_f16_e32 v4, v4
	v_cvt_f64_f32_e32 v[6:7], v8
	v_cvt_f64_f32_e32 v[8:9], v4
	v_mul_f64 v[6:7], v[6:7], s[12:13]
	v_mul_f64 v[8:9], v[8:9], s[12:13]
	v_and_or_b32 v4, v7, s15, v6
	v_cmp_ne_u32_e32 vcc, 0, v4
	v_and_or_b32 v8, v9, s15, v8
	v_lshrrev_b32_e32 v6, 8, v7
	v_bfe_u32 v10, v7, 20, 11
	v_cndmask_b32_e64 v4, 0, 1, vcc
	v_cmp_ne_u32_e32 vcc, 0, v8
	v_lshrrev_b32_e32 v11, 8, v9
	v_bfe_u32 v12, v9, 20, 11
	v_sub_u32_e32 v13, 0x3f1, v10
	v_cndmask_b32_e64 v8, 0, 1, vcc
	v_and_or_b32 v4, v6, s10, v4
	v_sub_u32_e32 v14, 0x3f1, v12
	v_med3_i32 v6, v13, 0, 13
	v_and_or_b32 v8, v11, s10, v8
	v_or_b32_e32 v13, 0x1000, v4
	v_add_u32_e32 v10, 0xfffffc10, v10
	v_med3_i32 v11, v14, 0, 13
	v_cmp_ne_u32_e32 vcc, 0, v4
	v_or_b32_e32 v15, 0x1000, v8
	v_lshrrev_b32_e32 v22, v6, v13
	v_add_u32_e32 v12, 0xfffffc10, v12
	v_lshl_or_b32 v14, v10, 12, v4
	v_cndmask_b32_e64 v4, 0, 1, vcc
	v_cmp_ne_u32_e32 vcc, 0, v8
	v_lshrrev_b32_e32 v23, v11, v15
	v_lshlrev_b32_e32 v6, v6, v22
	v_lshl_or_b32 v18, v12, 12, v8
	v_cndmask_b32_e64 v8, 0, 1, vcc
	v_lshlrev_b32_e32 v11, v11, v23
	v_cmp_ne_u32_e32 vcc, v6, v13
	v_cndmask_b32_e64 v6, 0, 1, vcc
	v_cmp_ne_u32_e32 vcc, v11, v15
	v_cndmask_b32_e64 v11, 0, 1, vcc
	v_or_b32_e32 v6, v22, v6
	v_cmp_gt_i32_e32 vcc, 1, v10
	v_cndmask_b32_e32 v6, v14, v6, vcc
	v_or_b32_e32 v11, v23, v11
	v_cmp_gt_i32_e32 vcc, 1, v12
	v_and_b32_e32 v13, 7, v6
	v_cndmask_b32_e32 v11, v18, v11, vcc
	v_cmp_lt_i32_e32 vcc, 5, v13
	v_cmp_eq_u32_e64 s[0:1], 3, v13
	v_lshrrev_b32_e32 v6, 2, v6
	v_and_b32_e32 v14, 7, v11
	s_or_b64 vcc, s[0:1], vcc
	v_cmp_lt_i32_e64 s[2:3], 5, v14
	v_cmp_eq_u32_e64 s[4:5], 3, v14
	v_addc_co_u32_e32 v6, vcc, 0, v6, vcc
	v_lshrrev_b32_e32 v11, 2, v11
	s_or_b64 vcc, s[4:5], s[2:3]
	v_addc_co_u32_e32 v11, vcc, 0, v11, vcc
	v_cmp_gt_i32_e32 vcc, 31, v10
	v_cndmask_b32_e32 v6, v2, v6, vcc
	v_cmp_gt_i32_e32 vcc, 31, v12
	v_lshl_or_b32 v4, v4, 9, v2
	v_cndmask_b32_e32 v11, v2, v11, vcc
	v_cmp_eq_u32_e32 vcc, s11, v10
	v_lshrrev_b32_e32 v7, 16, v7
	v_lshl_or_b32 v8, v8, 9, v2
	v_cndmask_b32_e32 v4, v6, v4, vcc
	v_cmp_eq_u32_e32 vcc, s11, v12
	v_lshrrev_b32_e32 v9, 16, v9
	v_cndmask_b32_e32 v6, v11, v8, vcc
	v_and_or_b32 v4, v7, s14, v4
	v_and_or_b32 v6, v9, s14, v6
	v_and_b32_e32 v4, 0xffff, v4
	v_lshl_or_b32 v4, v6, 16, v4
	global_store_dword v[0:1], v4, off
	global_load_dword v4, v[16:17], off offset:3120
	v_lshrrev_b32_e32 v6, 16, v5
	v_add_co_u32_e32 v0, vcc, s6, v0
	v_addc_co_u32_e32 v1, vcc, v1, v3, vcc
	s_waitcnt vmcnt(0)
	v_mul_f16_sdwa v7, v6, v4 dst_sel:DWORD dst_unused:UNUSED_PAD src0_sel:DWORD src1_sel:WORD_1
	v_fma_f16 v7, v5, v4, v7
	v_mul_f16_sdwa v5, v5, v4 dst_sel:DWORD dst_unused:UNUSED_PAD src0_sel:DWORD src1_sel:WORD_1
	v_cvt_f32_f16_e32 v7, v7
	v_fma_f16 v4, v4, v6, -v5
	v_cvt_f32_f16_e32 v6, v4
	v_cvt_f64_f32_e32 v[4:5], v7
	v_cvt_f64_f32_e32 v[6:7], v6
	v_mul_f64 v[4:5], v[4:5], s[12:13]
	v_mul_f64 v[6:7], v[6:7], s[12:13]
	v_and_or_b32 v4, v5, s15, v4
	v_cmp_ne_u32_e32 vcc, 0, v4
	v_and_or_b32 v6, v7, s15, v6
	v_lshrrev_b32_e32 v8, 8, v5
	v_bfe_u32 v9, v5, 20, 11
	v_cndmask_b32_e64 v4, 0, 1, vcc
	v_cmp_ne_u32_e32 vcc, 0, v6
	v_lshrrev_b32_e32 v10, 8, v7
	v_bfe_u32 v11, v7, 20, 11
	v_sub_u32_e32 v12, 0x3f1, v9
	v_cndmask_b32_e64 v6, 0, 1, vcc
	v_and_or_b32 v4, v8, s10, v4
	v_sub_u32_e32 v13, 0x3f1, v11
	v_med3_i32 v8, v12, 0, 13
	v_and_or_b32 v6, v10, s10, v6
	v_or_b32_e32 v12, 0x1000, v4
	v_add_u32_e32 v9, 0xfffffc10, v9
	v_med3_i32 v10, v13, 0, 13
	v_cmp_ne_u32_e32 vcc, 0, v4
	v_or_b32_e32 v14, 0x1000, v6
	v_lshrrev_b32_e32 v18, v8, v12
	v_add_u32_e32 v11, 0xfffffc10, v11
	v_lshl_or_b32 v13, v9, 12, v4
	v_cndmask_b32_e64 v4, 0, 1, vcc
	v_cmp_ne_u32_e32 vcc, 0, v6
	v_lshrrev_b32_e32 v22, v10, v14
	v_lshlrev_b32_e32 v8, v8, v18
	v_lshl_or_b32 v15, v11, 12, v6
	v_cndmask_b32_e64 v6, 0, 1, vcc
	v_lshlrev_b32_e32 v10, v10, v22
	v_cmp_ne_u32_e32 vcc, v8, v12
	v_cndmask_b32_e64 v8, 0, 1, vcc
	v_cmp_ne_u32_e32 vcc, v10, v14
	v_cndmask_b32_e64 v10, 0, 1, vcc
	v_or_b32_e32 v8, v18, v8
	v_cmp_gt_i32_e32 vcc, 1, v9
	v_cndmask_b32_e32 v8, v13, v8, vcc
	v_or_b32_e32 v10, v22, v10
	v_cmp_gt_i32_e32 vcc, 1, v11
	v_and_b32_e32 v12, 7, v8
	v_cndmask_b32_e32 v10, v15, v10, vcc
	v_cmp_lt_i32_e32 vcc, 5, v12
	v_cmp_eq_u32_e64 s[0:1], 3, v12
	v_lshrrev_b32_e32 v8, 2, v8
	v_and_b32_e32 v13, 7, v10
	s_or_b64 vcc, s[0:1], vcc
	v_cmp_lt_i32_e64 s[2:3], 5, v13
	v_cmp_eq_u32_e64 s[4:5], 3, v13
	v_addc_co_u32_e32 v8, vcc, 0, v8, vcc
	v_lshrrev_b32_e32 v10, 2, v10
	s_or_b64 vcc, s[4:5], s[2:3]
	v_addc_co_u32_e32 v10, vcc, 0, v10, vcc
	v_cmp_gt_i32_e32 vcc, 31, v9
	v_cndmask_b32_e32 v8, v2, v8, vcc
	v_cmp_gt_i32_e32 vcc, 31, v11
	v_lshl_or_b32 v4, v4, 9, v2
	v_cndmask_b32_e32 v10, v2, v10, vcc
	v_cmp_eq_u32_e32 vcc, s11, v9
	v_lshrrev_b32_e32 v5, 16, v5
	v_lshl_or_b32 v6, v6, 9, v2
	v_cndmask_b32_e32 v4, v8, v4, vcc
	v_cmp_eq_u32_e32 vcc, s11, v11
	v_lshrrev_b32_e32 v7, 16, v7
	v_cndmask_b32_e32 v6, v10, v6, vcc
	v_and_or_b32 v4, v5, s14, v4
	v_and_or_b32 v5, v7, s14, v6
	v_and_b32_e32 v4, 0xffff, v4
	v_lshl_or_b32 v4, v5, 16, v4
	global_store_dword v[0:1], v4, off
	global_load_dword v6, v[16:17], off offset:3444
	ds_read2_b32 v[4:5], v21 offset0:93 offset1:174
	v_add_co_u32_e32 v0, vcc, s6, v0
	v_addc_co_u32_e32 v1, vcc, v1, v3, vcc
	s_waitcnt lgkmcnt(0)
	v_lshrrev_b32_e32 v7, 16, v4
	s_waitcnt vmcnt(0)
	v_mul_f16_sdwa v8, v7, v6 dst_sel:DWORD dst_unused:UNUSED_PAD src0_sel:DWORD src1_sel:WORD_1
	v_fma_f16 v8, v4, v6, v8
	v_mul_f16_sdwa v4, v4, v6 dst_sel:DWORD dst_unused:UNUSED_PAD src0_sel:DWORD src1_sel:WORD_1
	v_cvt_f32_f16_e32 v8, v8
	v_fma_f16 v4, v6, v7, -v4
	v_cvt_f32_f16_e32 v4, v4
	v_cvt_f64_f32_e32 v[6:7], v8
	v_cvt_f64_f32_e32 v[8:9], v4
	v_mul_f64 v[6:7], v[6:7], s[12:13]
	v_mul_f64 v[8:9], v[8:9], s[12:13]
	v_and_or_b32 v4, v7, s15, v6
	v_cmp_ne_u32_e32 vcc, 0, v4
	v_and_or_b32 v8, v9, s15, v8
	v_lshrrev_b32_e32 v6, 8, v7
	v_bfe_u32 v10, v7, 20, 11
	v_cndmask_b32_e64 v4, 0, 1, vcc
	v_cmp_ne_u32_e32 vcc, 0, v8
	v_lshrrev_b32_e32 v11, 8, v9
	v_bfe_u32 v12, v9, 20, 11
	v_sub_u32_e32 v13, 0x3f1, v10
	v_cndmask_b32_e64 v8, 0, 1, vcc
	v_and_or_b32 v4, v6, s10, v4
	v_sub_u32_e32 v14, 0x3f1, v12
	v_med3_i32 v6, v13, 0, 13
	v_and_or_b32 v8, v11, s10, v8
	v_or_b32_e32 v13, 0x1000, v4
	v_add_u32_e32 v10, 0xfffffc10, v10
	v_med3_i32 v11, v14, 0, 13
	v_cmp_ne_u32_e32 vcc, 0, v4
	v_or_b32_e32 v15, 0x1000, v8
	v_lshrrev_b32_e32 v21, v6, v13
	v_add_u32_e32 v12, 0xfffffc10, v12
	v_lshl_or_b32 v14, v10, 12, v4
	v_cndmask_b32_e64 v4, 0, 1, vcc
	v_cmp_ne_u32_e32 vcc, 0, v8
	v_lshrrev_b32_e32 v22, v11, v15
	v_lshlrev_b32_e32 v6, v6, v21
	v_lshl_or_b32 v18, v12, 12, v8
	v_cndmask_b32_e64 v8, 0, 1, vcc
	v_lshlrev_b32_e32 v11, v11, v22
	v_cmp_ne_u32_e32 vcc, v6, v13
	v_cndmask_b32_e64 v6, 0, 1, vcc
	v_cmp_ne_u32_e32 vcc, v11, v15
	v_cndmask_b32_e64 v11, 0, 1, vcc
	v_or_b32_e32 v6, v21, v6
	v_cmp_gt_i32_e32 vcc, 1, v10
	v_cndmask_b32_e32 v6, v14, v6, vcc
	v_or_b32_e32 v11, v22, v11
	v_cmp_gt_i32_e32 vcc, 1, v12
	v_and_b32_e32 v13, 7, v6
	v_cndmask_b32_e32 v11, v18, v11, vcc
	v_cmp_lt_i32_e32 vcc, 5, v13
	v_cmp_eq_u32_e64 s[0:1], 3, v13
	v_lshrrev_b32_e32 v6, 2, v6
	v_and_b32_e32 v14, 7, v11
	s_or_b64 vcc, s[0:1], vcc
	v_cmp_lt_i32_e64 s[2:3], 5, v14
	v_cmp_eq_u32_e64 s[4:5], 3, v14
	v_addc_co_u32_e32 v6, vcc, 0, v6, vcc
	v_lshrrev_b32_e32 v11, 2, v11
	s_or_b64 vcc, s[4:5], s[2:3]
	v_addc_co_u32_e32 v11, vcc, 0, v11, vcc
	v_cmp_gt_i32_e32 vcc, 31, v10
	v_cndmask_b32_e32 v6, v2, v6, vcc
	v_cmp_gt_i32_e32 vcc, 31, v12
	v_lshl_or_b32 v4, v4, 9, v2
	v_cndmask_b32_e32 v11, v2, v11, vcc
	v_cmp_eq_u32_e32 vcc, s11, v10
	v_lshrrev_b32_e32 v7, 16, v7
	v_lshl_or_b32 v8, v8, 9, v2
	v_cndmask_b32_e32 v4, v6, v4, vcc
	v_cmp_eq_u32_e32 vcc, s11, v12
	v_lshrrev_b32_e32 v9, 16, v9
	v_cndmask_b32_e32 v6, v11, v8, vcc
	v_and_or_b32 v4, v7, s14, v4
	v_and_or_b32 v6, v9, s14, v6
	v_and_b32_e32 v4, 0xffff, v4
	v_lshl_or_b32 v4, v6, 16, v4
	global_store_dword v[0:1], v4, off
	global_load_dword v4, v[16:17], off offset:3768
	v_lshrrev_b32_e32 v6, 16, v5
	v_add_co_u32_e32 v8, vcc, s6, v0
	v_addc_co_u32_e32 v9, vcc, v1, v3, vcc
	s_waitcnt vmcnt(0)
	v_mul_f16_sdwa v7, v6, v4 dst_sel:DWORD dst_unused:UNUSED_PAD src0_sel:DWORD src1_sel:WORD_1
	v_fma_f16 v7, v5, v4, v7
	v_mul_f16_sdwa v5, v5, v4 dst_sel:DWORD dst_unused:UNUSED_PAD src0_sel:DWORD src1_sel:WORD_1
	v_cvt_f32_f16_e32 v7, v7
	v_fma_f16 v4, v4, v6, -v5
	v_cvt_f32_f16_e32 v6, v4
	v_cvt_f64_f32_e32 v[4:5], v7
	v_cvt_f64_f32_e32 v[6:7], v6
	v_mul_f64 v[4:5], v[4:5], s[12:13]
	v_mul_f64 v[6:7], v[6:7], s[12:13]
	v_and_or_b32 v0, v5, s15, v4
	v_cmp_ne_u32_e32 vcc, 0, v0
	v_and_or_b32 v6, v7, s15, v6
	v_lshrrev_b32_e32 v1, 8, v5
	v_bfe_u32 v4, v5, 20, 11
	v_cndmask_b32_e64 v0, 0, 1, vcc
	v_cmp_ne_u32_e32 vcc, 0, v6
	v_lshrrev_b32_e32 v10, 8, v7
	v_bfe_u32 v11, v7, 20, 11
	v_sub_u32_e32 v12, 0x3f1, v4
	v_cndmask_b32_e64 v6, 0, 1, vcc
	v_and_or_b32 v0, v1, s10, v0
	v_sub_u32_e32 v13, 0x3f1, v11
	v_med3_i32 v1, v12, 0, 13
	v_and_or_b32 v6, v10, s10, v6
	v_or_b32_e32 v12, 0x1000, v0
	v_add_u32_e32 v4, 0xfffffc10, v4
	v_med3_i32 v10, v13, 0, 13
	v_cmp_ne_u32_e32 vcc, 0, v0
	v_or_b32_e32 v14, 0x1000, v6
	v_lshrrev_b32_e32 v18, v1, v12
	v_add_u32_e32 v11, 0xfffffc10, v11
	v_lshl_or_b32 v13, v4, 12, v0
	v_cndmask_b32_e64 v0, 0, 1, vcc
	v_cmp_ne_u32_e32 vcc, 0, v6
	v_lshrrev_b32_e32 v21, v10, v14
	v_lshlrev_b32_e32 v1, v1, v18
	v_lshl_or_b32 v15, v11, 12, v6
	v_cndmask_b32_e64 v6, 0, 1, vcc
	v_lshlrev_b32_e32 v10, v10, v21
	v_cmp_ne_u32_e32 vcc, v1, v12
	v_cndmask_b32_e64 v1, 0, 1, vcc
	v_cmp_ne_u32_e32 vcc, v10, v14
	v_cndmask_b32_e64 v10, 0, 1, vcc
	v_or_b32_e32 v1, v18, v1
	v_cmp_gt_i32_e32 vcc, 1, v4
	v_cndmask_b32_e32 v1, v13, v1, vcc
	v_or_b32_e32 v10, v21, v10
	v_cmp_gt_i32_e32 vcc, 1, v11
	v_and_b32_e32 v12, 7, v1
	v_cndmask_b32_e32 v10, v15, v10, vcc
	v_cmp_lt_i32_e32 vcc, 5, v12
	v_cmp_eq_u32_e64 s[0:1], 3, v12
	v_lshrrev_b32_e32 v1, 2, v1
	v_and_b32_e32 v13, 7, v10
	s_or_b64 vcc, s[0:1], vcc
	v_cmp_lt_i32_e64 s[2:3], 5, v13
	v_cmp_eq_u32_e64 s[4:5], 3, v13
	v_addc_co_u32_e32 v1, vcc, 0, v1, vcc
	v_lshrrev_b32_e32 v10, 2, v10
	s_or_b64 vcc, s[4:5], s[2:3]
	v_addc_co_u32_e32 v10, vcc, 0, v10, vcc
	v_cmp_gt_i32_e32 vcc, 31, v4
	v_cndmask_b32_e32 v1, v2, v1, vcc
	v_cmp_gt_i32_e32 vcc, 31, v11
	v_lshl_or_b32 v0, v0, 9, v2
	v_cndmask_b32_e32 v10, v2, v10, vcc
	v_cmp_eq_u32_e32 vcc, s11, v4
	v_lshrrev_b32_e32 v5, 16, v5
	v_lshl_or_b32 v6, v6, 9, v2
	v_cndmask_b32_e32 v0, v1, v0, vcc
	v_cmp_eq_u32_e32 vcc, s11, v11
	v_lshrrev_b32_e32 v7, 16, v7
	v_cndmask_b32_e32 v1, v10, v6, vcc
	v_and_or_b32 v0, v5, s14, v0
	v_and_or_b32 v1, v7, s14, v1
	v_and_b32_e32 v0, 0xffff, v0
	v_lshl_or_b32 v0, v1, 16, v0
	global_store_dword v[8:9], v0, off
	global_load_dword v0, v[16:17], off offset:4092
	ds_read2_b32 v[4:5], v20 offset0:127 offset1:208
	s_waitcnt lgkmcnt(0)
	v_lshrrev_b32_e32 v1, 16, v4
	s_waitcnt vmcnt(0)
	v_mul_f16_sdwa v6, v1, v0 dst_sel:DWORD dst_unused:UNUSED_PAD src0_sel:DWORD src1_sel:WORD_1
	v_fma_f16 v6, v4, v0, v6
	v_mul_f16_sdwa v4, v4, v0 dst_sel:DWORD dst_unused:UNUSED_PAD src0_sel:DWORD src1_sel:WORD_1
	v_cvt_f32_f16_e32 v6, v6
	v_fma_f16 v0, v0, v1, -v4
	v_cvt_f32_f16_e32 v4, v0
	v_cvt_f64_f32_e32 v[0:1], v6
	v_cvt_f64_f32_e32 v[6:7], v4
	v_mul_f64 v[10:11], v[0:1], s[12:13]
	v_add_co_u32_e32 v0, vcc, s16, v16
	v_mul_f64 v[6:7], v[6:7], s[12:13]
	v_addc_co_u32_e32 v1, vcc, 0, v17, vcc
	v_add_co_u32_e32 v8, vcc, s6, v8
	v_addc_co_u32_e32 v9, vcc, v9, v3, vcc
	v_and_or_b32 v4, v11, s15, v10
	v_and_or_b32 v6, v7, s15, v6
	v_cmp_ne_u32_e32 vcc, 0, v4
	v_lshrrev_b32_e32 v10, 8, v11
	v_bfe_u32 v12, v11, 20, 11
	v_cndmask_b32_e64 v4, 0, 1, vcc
	v_cmp_ne_u32_e32 vcc, 0, v6
	v_lshrrev_b32_e32 v13, 8, v7
	v_bfe_u32 v14, v7, 20, 11
	v_sub_u32_e32 v15, 0x3f1, v12
	v_cndmask_b32_e64 v6, 0, 1, vcc
	v_and_or_b32 v4, v10, s10, v4
	v_sub_u32_e32 v16, 0x3f1, v14
	v_med3_i32 v10, v15, 0, 13
	v_and_or_b32 v6, v13, s10, v6
	v_or_b32_e32 v15, 0x1000, v4
	v_add_u32_e32 v12, 0xfffffc10, v12
	v_med3_i32 v13, v16, 0, 13
	v_cmp_ne_u32_e32 vcc, 0, v4
	v_or_b32_e32 v17, 0x1000, v6
	v_lshrrev_b32_e32 v20, v10, v15
	v_add_u32_e32 v14, 0xfffffc10, v14
	v_lshl_or_b32 v16, v12, 12, v4
	v_cndmask_b32_e64 v4, 0, 1, vcc
	v_cmp_ne_u32_e32 vcc, 0, v6
	v_lshrrev_b32_e32 v21, v13, v17
	v_lshlrev_b32_e32 v10, v10, v20
	v_lshl_or_b32 v18, v14, 12, v6
	v_cndmask_b32_e64 v6, 0, 1, vcc
	v_lshlrev_b32_e32 v13, v13, v21
	v_cmp_ne_u32_e32 vcc, v10, v15
	v_cndmask_b32_e64 v10, 0, 1, vcc
	v_cmp_ne_u32_e32 vcc, v13, v17
	v_cndmask_b32_e64 v13, 0, 1, vcc
	v_or_b32_e32 v10, v20, v10
	v_cmp_gt_i32_e32 vcc, 1, v12
	v_cndmask_b32_e32 v10, v16, v10, vcc
	v_or_b32_e32 v13, v21, v13
	v_cmp_gt_i32_e32 vcc, 1, v14
	v_and_b32_e32 v15, 7, v10
	v_cndmask_b32_e32 v13, v18, v13, vcc
	v_cmp_lt_i32_e32 vcc, 5, v15
	v_cmp_eq_u32_e64 s[0:1], 3, v15
	v_lshrrev_b32_e32 v10, 2, v10
	v_and_b32_e32 v16, 7, v13
	s_or_b64 vcc, s[0:1], vcc
	v_cmp_lt_i32_e64 s[2:3], 5, v16
	v_cmp_eq_u32_e64 s[4:5], 3, v16
	v_addc_co_u32_e32 v10, vcc, 0, v10, vcc
	v_lshrrev_b32_e32 v13, 2, v13
	s_or_b64 vcc, s[4:5], s[2:3]
	v_addc_co_u32_e32 v13, vcc, 0, v13, vcc
	v_cmp_gt_i32_e32 vcc, 31, v12
	v_cndmask_b32_e32 v10, v2, v10, vcc
	v_cmp_gt_i32_e32 vcc, 31, v14
	v_lshl_or_b32 v4, v4, 9, v2
	v_cndmask_b32_e32 v13, v2, v13, vcc
	v_cmp_eq_u32_e32 vcc, s11, v12
	v_lshrrev_b32_e32 v11, 16, v11
	v_lshl_or_b32 v6, v6, 9, v2
	v_cndmask_b32_e32 v4, v10, v4, vcc
	v_cmp_eq_u32_e32 vcc, s11, v14
	v_lshrrev_b32_e32 v7, 16, v7
	v_cndmask_b32_e32 v6, v13, v6, vcc
	v_and_or_b32 v4, v11, s14, v4
	v_and_or_b32 v6, v7, s14, v6
	v_and_b32_e32 v4, 0xffff, v4
	v_lshl_or_b32 v4, v6, 16, v4
	global_store_dword v[8:9], v4, off
	global_load_dword v4, v[0:1], off offset:320
	v_lshrrev_b32_e32 v6, 16, v5
	v_add_co_u32_e32 v8, vcc, s6, v8
	v_addc_co_u32_e32 v9, vcc, v9, v3, vcc
	s_waitcnt vmcnt(0)
	v_mul_f16_sdwa v7, v6, v4 dst_sel:DWORD dst_unused:UNUSED_PAD src0_sel:DWORD src1_sel:WORD_1
	v_fma_f16 v7, v5, v4, v7
	v_mul_f16_sdwa v5, v5, v4 dst_sel:DWORD dst_unused:UNUSED_PAD src0_sel:DWORD src1_sel:WORD_1
	v_cvt_f32_f16_e32 v7, v7
	v_fma_f16 v4, v4, v6, -v5
	v_cvt_f32_f16_e32 v6, v4
	v_cvt_f64_f32_e32 v[4:5], v7
	v_cvt_f64_f32_e32 v[6:7], v6
	v_mul_f64 v[4:5], v[4:5], s[12:13]
	v_mul_f64 v[6:7], v[6:7], s[12:13]
	v_and_or_b32 v4, v5, s15, v4
	v_cmp_ne_u32_e32 vcc, 0, v4
	v_and_or_b32 v6, v7, s15, v6
	v_lshrrev_b32_e32 v10, 8, v5
	v_bfe_u32 v11, v5, 20, 11
	v_cndmask_b32_e64 v4, 0, 1, vcc
	v_cmp_ne_u32_e32 vcc, 0, v6
	v_lshrrev_b32_e32 v12, 8, v7
	v_bfe_u32 v13, v7, 20, 11
	v_sub_u32_e32 v14, 0x3f1, v11
	v_cndmask_b32_e64 v6, 0, 1, vcc
	v_and_or_b32 v4, v10, s10, v4
	v_sub_u32_e32 v15, 0x3f1, v13
	v_med3_i32 v10, v14, 0, 13
	v_and_or_b32 v6, v12, s10, v6
	v_or_b32_e32 v14, 0x1000, v4
	v_add_u32_e32 v11, 0xfffffc10, v11
	v_med3_i32 v12, v15, 0, 13
	v_cmp_ne_u32_e32 vcc, 0, v4
	v_or_b32_e32 v16, 0x1000, v6
	v_lshrrev_b32_e32 v18, v10, v14
	v_add_u32_e32 v13, 0xfffffc10, v13
	v_lshl_or_b32 v15, v11, 12, v4
	v_cndmask_b32_e64 v4, 0, 1, vcc
	v_cmp_ne_u32_e32 vcc, 0, v6
	v_lshrrev_b32_e32 v20, v12, v16
	v_lshlrev_b32_e32 v10, v10, v18
	v_lshl_or_b32 v17, v13, 12, v6
	v_cndmask_b32_e64 v6, 0, 1, vcc
	v_lshlrev_b32_e32 v12, v12, v20
	v_cmp_ne_u32_e32 vcc, v10, v14
	v_cndmask_b32_e64 v10, 0, 1, vcc
	v_cmp_ne_u32_e32 vcc, v12, v16
	v_cndmask_b32_e64 v12, 0, 1, vcc
	v_or_b32_e32 v10, v18, v10
	v_cmp_gt_i32_e32 vcc, 1, v11
	v_cndmask_b32_e32 v10, v15, v10, vcc
	v_or_b32_e32 v12, v20, v12
	v_cmp_gt_i32_e32 vcc, 1, v13
	v_and_b32_e32 v14, 7, v10
	v_cndmask_b32_e32 v12, v17, v12, vcc
	v_cmp_lt_i32_e32 vcc, 5, v14
	v_cmp_eq_u32_e64 s[0:1], 3, v14
	v_lshrrev_b32_e32 v10, 2, v10
	v_and_b32_e32 v15, 7, v12
	s_or_b64 vcc, s[0:1], vcc
	v_cmp_lt_i32_e64 s[2:3], 5, v15
	v_cmp_eq_u32_e64 s[4:5], 3, v15
	v_addc_co_u32_e32 v10, vcc, 0, v10, vcc
	v_lshrrev_b32_e32 v12, 2, v12
	s_or_b64 vcc, s[4:5], s[2:3]
	v_addc_co_u32_e32 v12, vcc, 0, v12, vcc
	v_cmp_gt_i32_e32 vcc, 31, v11
	v_cndmask_b32_e32 v10, v2, v10, vcc
	v_cmp_gt_i32_e32 vcc, 31, v13
	v_lshl_or_b32 v4, v4, 9, v2
	v_cndmask_b32_e32 v12, v2, v12, vcc
	v_cmp_eq_u32_e32 vcc, s11, v11
	v_lshrrev_b32_e32 v5, 16, v5
	v_lshl_or_b32 v6, v6, 9, v2
	v_cndmask_b32_e32 v4, v10, v4, vcc
	v_cmp_eq_u32_e32 vcc, s11, v13
	v_lshrrev_b32_e32 v7, 16, v7
	v_cndmask_b32_e32 v6, v12, v6, vcc
	v_and_or_b32 v4, v5, s14, v4
	v_and_or_b32 v5, v7, s14, v6
	v_and_b32_e32 v4, 0xffff, v4
	v_lshl_or_b32 v4, v5, 16, v4
	global_store_dword v[8:9], v4, off
	global_load_dword v6, v[0:1], off offset:644
	ds_read2_b32 v[4:5], v19 offset0:161 offset1:242
	v_add_co_u32_e32 v8, vcc, s6, v8
	v_addc_co_u32_e32 v9, vcc, v9, v3, vcc
	s_waitcnt lgkmcnt(0)
	v_lshrrev_b32_e32 v7, 16, v4
	s_waitcnt vmcnt(0)
	v_mul_f16_sdwa v10, v7, v6 dst_sel:DWORD dst_unused:UNUSED_PAD src0_sel:DWORD src1_sel:WORD_1
	v_fma_f16 v10, v4, v6, v10
	v_mul_f16_sdwa v4, v4, v6 dst_sel:DWORD dst_unused:UNUSED_PAD src0_sel:DWORD src1_sel:WORD_1
	v_cvt_f32_f16_e32 v10, v10
	v_fma_f16 v4, v6, v7, -v4
	v_cvt_f32_f16_e32 v4, v4
	v_cvt_f64_f32_e32 v[6:7], v10
	v_cvt_f64_f32_e32 v[10:11], v4
	v_mul_f64 v[6:7], v[6:7], s[12:13]
	v_mul_f64 v[10:11], v[10:11], s[12:13]
	v_and_or_b32 v4, v7, s15, v6
	v_cmp_ne_u32_e32 vcc, 0, v4
	v_and_or_b32 v10, v11, s15, v10
	v_lshrrev_b32_e32 v6, 8, v7
	v_bfe_u32 v12, v7, 20, 11
	v_cndmask_b32_e64 v4, 0, 1, vcc
	v_cmp_ne_u32_e32 vcc, 0, v10
	v_lshrrev_b32_e32 v13, 8, v11
	v_bfe_u32 v14, v11, 20, 11
	v_sub_u32_e32 v15, 0x3f1, v12
	v_cndmask_b32_e64 v10, 0, 1, vcc
	v_and_or_b32 v4, v6, s10, v4
	v_sub_u32_e32 v16, 0x3f1, v14
	v_med3_i32 v6, v15, 0, 13
	v_and_or_b32 v10, v13, s10, v10
	v_or_b32_e32 v15, 0x1000, v4
	v_add_u32_e32 v12, 0xfffffc10, v12
	v_med3_i32 v13, v16, 0, 13
	v_cmp_ne_u32_e32 vcc, 0, v4
	v_or_b32_e32 v17, 0x1000, v10
	v_lshrrev_b32_e32 v19, v6, v15
	v_add_u32_e32 v14, 0xfffffc10, v14
	v_lshl_or_b32 v16, v12, 12, v4
	v_cndmask_b32_e64 v4, 0, 1, vcc
	v_cmp_ne_u32_e32 vcc, 0, v10
	v_lshrrev_b32_e32 v20, v13, v17
	v_lshlrev_b32_e32 v6, v6, v19
	v_lshl_or_b32 v18, v14, 12, v10
	v_cndmask_b32_e64 v10, 0, 1, vcc
	v_lshlrev_b32_e32 v13, v13, v20
	v_cmp_ne_u32_e32 vcc, v6, v15
	v_cndmask_b32_e64 v6, 0, 1, vcc
	v_cmp_ne_u32_e32 vcc, v13, v17
	v_cndmask_b32_e64 v13, 0, 1, vcc
	v_or_b32_e32 v6, v19, v6
	v_cmp_gt_i32_e32 vcc, 1, v12
	v_cndmask_b32_e32 v6, v16, v6, vcc
	v_or_b32_e32 v13, v20, v13
	v_cmp_gt_i32_e32 vcc, 1, v14
	v_and_b32_e32 v15, 7, v6
	v_cndmask_b32_e32 v13, v18, v13, vcc
	v_cmp_lt_i32_e32 vcc, 5, v15
	v_cmp_eq_u32_e64 s[0:1], 3, v15
	v_lshrrev_b32_e32 v6, 2, v6
	v_and_b32_e32 v16, 7, v13
	s_or_b64 vcc, s[0:1], vcc
	v_cmp_lt_i32_e64 s[2:3], 5, v16
	v_cmp_eq_u32_e64 s[4:5], 3, v16
	v_addc_co_u32_e32 v6, vcc, 0, v6, vcc
	v_lshrrev_b32_e32 v13, 2, v13
	s_or_b64 vcc, s[4:5], s[2:3]
	v_addc_co_u32_e32 v13, vcc, 0, v13, vcc
	v_cmp_gt_i32_e32 vcc, 31, v12
	v_cndmask_b32_e32 v6, v2, v6, vcc
	v_cmp_gt_i32_e32 vcc, 31, v14
	v_lshl_or_b32 v4, v4, 9, v2
	v_cndmask_b32_e32 v13, v2, v13, vcc
	v_cmp_eq_u32_e32 vcc, s11, v12
	v_lshrrev_b32_e32 v7, 16, v7
	v_lshl_or_b32 v10, v10, 9, v2
	v_cndmask_b32_e32 v4, v6, v4, vcc
	v_cmp_eq_u32_e32 vcc, s11, v14
	v_lshrrev_b32_e32 v11, 16, v11
	v_cndmask_b32_e32 v6, v13, v10, vcc
	v_and_or_b32 v4, v7, s14, v4
	v_and_or_b32 v6, v11, s14, v6
	v_and_b32_e32 v4, 0xffff, v4
	v_lshl_or_b32 v4, v6, 16, v4
	global_store_dword v[8:9], v4, off
	global_load_dword v4, v[0:1], off offset:968
	v_lshrrev_b32_e32 v6, 16, v5
	v_add_co_u32_e32 v8, vcc, s6, v8
	v_addc_co_u32_e32 v9, vcc, v9, v3, vcc
	s_waitcnt vmcnt(0)
	v_mul_f16_sdwa v7, v6, v4 dst_sel:DWORD dst_unused:UNUSED_PAD src0_sel:DWORD src1_sel:WORD_1
	v_fma_f16 v7, v5, v4, v7
	v_mul_f16_sdwa v5, v5, v4 dst_sel:DWORD dst_unused:UNUSED_PAD src0_sel:DWORD src1_sel:WORD_1
	v_cvt_f32_f16_e32 v7, v7
	v_fma_f16 v4, v4, v6, -v5
	v_cvt_f32_f16_e32 v6, v4
	v_cvt_f64_f32_e32 v[4:5], v7
	v_cvt_f64_f32_e32 v[6:7], v6
	v_mul_f64 v[4:5], v[4:5], s[12:13]
	v_mul_f64 v[6:7], v[6:7], s[12:13]
	v_and_or_b32 v4, v5, s15, v4
	v_cmp_ne_u32_e32 vcc, 0, v4
	v_and_or_b32 v6, v7, s15, v6
	v_lshrrev_b32_e32 v10, 8, v5
	v_bfe_u32 v11, v5, 20, 11
	v_cndmask_b32_e64 v4, 0, 1, vcc
	v_cmp_ne_u32_e32 vcc, 0, v6
	v_lshrrev_b32_e32 v12, 8, v7
	v_bfe_u32 v13, v7, 20, 11
	v_sub_u32_e32 v14, 0x3f1, v11
	v_cndmask_b32_e64 v6, 0, 1, vcc
	v_and_or_b32 v4, v10, s10, v4
	v_sub_u32_e32 v15, 0x3f1, v13
	v_med3_i32 v10, v14, 0, 13
	v_and_or_b32 v6, v12, s10, v6
	v_or_b32_e32 v14, 0x1000, v4
	v_add_u32_e32 v11, 0xfffffc10, v11
	v_med3_i32 v12, v15, 0, 13
	v_cmp_ne_u32_e32 vcc, 0, v4
	v_or_b32_e32 v16, 0x1000, v6
	v_lshrrev_b32_e32 v18, v10, v14
	v_add_u32_e32 v13, 0xfffffc10, v13
	v_lshl_or_b32 v15, v11, 12, v4
	v_cndmask_b32_e64 v4, 0, 1, vcc
	v_cmp_ne_u32_e32 vcc, 0, v6
	v_lshrrev_b32_e32 v19, v12, v16
	v_lshlrev_b32_e32 v10, v10, v18
	v_lshl_or_b32 v17, v13, 12, v6
	v_cndmask_b32_e64 v6, 0, 1, vcc
	v_lshlrev_b32_e32 v12, v12, v19
	v_cmp_ne_u32_e32 vcc, v10, v14
	v_cndmask_b32_e64 v10, 0, 1, vcc
	v_cmp_ne_u32_e32 vcc, v12, v16
	v_cndmask_b32_e64 v12, 0, 1, vcc
	v_or_b32_e32 v10, v18, v10
	v_cmp_gt_i32_e32 vcc, 1, v11
	v_cndmask_b32_e32 v10, v15, v10, vcc
	v_or_b32_e32 v12, v19, v12
	v_cmp_gt_i32_e32 vcc, 1, v13
	v_and_b32_e32 v14, 7, v10
	v_cndmask_b32_e32 v12, v17, v12, vcc
	v_cmp_lt_i32_e32 vcc, 5, v14
	v_cmp_eq_u32_e64 s[0:1], 3, v14
	v_lshrrev_b32_e32 v10, 2, v10
	v_and_b32_e32 v15, 7, v12
	s_or_b64 vcc, s[0:1], vcc
	v_cmp_lt_i32_e64 s[2:3], 5, v15
	v_cmp_eq_u32_e64 s[4:5], 3, v15
	v_addc_co_u32_e32 v10, vcc, 0, v10, vcc
	v_lshrrev_b32_e32 v12, 2, v12
	s_or_b64 vcc, s[4:5], s[2:3]
	v_addc_co_u32_e32 v12, vcc, 0, v12, vcc
	v_cmp_gt_i32_e32 vcc, 31, v11
	v_cndmask_b32_e32 v10, v2, v10, vcc
	v_cmp_gt_i32_e32 vcc, 31, v13
	v_lshl_or_b32 v4, v4, 9, v2
	v_cndmask_b32_e32 v12, v2, v12, vcc
	v_cmp_eq_u32_e32 vcc, s11, v11
	v_lshrrev_b32_e32 v5, 16, v5
	v_lshl_or_b32 v6, v6, 9, v2
	v_cndmask_b32_e32 v4, v10, v4, vcc
	v_cmp_eq_u32_e32 vcc, s11, v13
	v_lshrrev_b32_e32 v7, 16, v7
	v_cndmask_b32_e32 v6, v12, v6, vcc
	v_and_or_b32 v4, v5, s14, v4
	v_and_or_b32 v5, v7, s14, v6
	v_and_b32_e32 v4, 0xffff, v4
	v_lshl_or_b32 v4, v5, 16, v4
	global_store_dword v[8:9], v4, off
	global_load_dword v0, v[0:1], off offset:1292
	ds_read_b32 v1, v87 offset:5388
	s_waitcnt lgkmcnt(0)
	v_lshrrev_b32_e32 v4, 16, v1
	s_waitcnt vmcnt(0)
	v_mul_f16_sdwa v5, v4, v0 dst_sel:DWORD dst_unused:UNUSED_PAD src0_sel:DWORD src1_sel:WORD_1
	v_fma_f16 v5, v1, v0, v5
	v_mul_f16_sdwa v1, v1, v0 dst_sel:DWORD dst_unused:UNUSED_PAD src0_sel:DWORD src1_sel:WORD_1
	v_cvt_f32_f16_e32 v5, v5
	v_fma_f16 v0, v0, v4, -v1
	v_cvt_f32_f16_e32 v4, v0
	v_cvt_f64_f32_e32 v[0:1], v5
	v_cvt_f64_f32_e32 v[4:5], v4
	v_mul_f64 v[0:1], v[0:1], s[12:13]
	v_mul_f64 v[4:5], v[4:5], s[12:13]
	v_and_or_b32 v0, v1, s15, v0
	v_cmp_ne_u32_e32 vcc, 0, v0
	v_and_or_b32 v4, v5, s15, v4
	v_lshrrev_b32_e32 v6, 8, v1
	v_bfe_u32 v7, v1, 20, 11
	v_cndmask_b32_e64 v0, 0, 1, vcc
	v_cmp_ne_u32_e32 vcc, 0, v4
	v_lshrrev_b32_e32 v10, 8, v5
	v_bfe_u32 v11, v5, 20, 11
	v_sub_u32_e32 v12, 0x3f1, v7
	v_cndmask_b32_e64 v4, 0, 1, vcc
	v_and_or_b32 v0, v6, s10, v0
	v_sub_u32_e32 v13, 0x3f1, v11
	v_med3_i32 v6, v12, 0, 13
	v_and_or_b32 v4, v10, s10, v4
	v_or_b32_e32 v12, 0x1000, v0
	v_add_u32_e32 v7, 0xfffffc10, v7
	v_med3_i32 v10, v13, 0, 13
	v_cmp_ne_u32_e32 vcc, 0, v0
	v_or_b32_e32 v14, 0x1000, v4
	v_lshrrev_b32_e32 v16, v6, v12
	v_add_u32_e32 v11, 0xfffffc10, v11
	v_lshl_or_b32 v13, v7, 12, v0
	v_cndmask_b32_e64 v0, 0, 1, vcc
	v_cmp_ne_u32_e32 vcc, 0, v4
	v_lshrrev_b32_e32 v17, v10, v14
	v_lshlrev_b32_e32 v6, v6, v16
	v_lshl_or_b32 v15, v11, 12, v4
	v_cndmask_b32_e64 v4, 0, 1, vcc
	v_lshlrev_b32_e32 v10, v10, v17
	v_cmp_ne_u32_e32 vcc, v6, v12
	v_cndmask_b32_e64 v6, 0, 1, vcc
	v_cmp_ne_u32_e32 vcc, v10, v14
	v_cndmask_b32_e64 v10, 0, 1, vcc
	v_or_b32_e32 v6, v16, v6
	v_cmp_gt_i32_e32 vcc, 1, v7
	v_cndmask_b32_e32 v6, v13, v6, vcc
	v_or_b32_e32 v10, v17, v10
	v_cmp_gt_i32_e32 vcc, 1, v11
	v_and_b32_e32 v12, 7, v6
	v_cndmask_b32_e32 v10, v15, v10, vcc
	v_cmp_lt_i32_e32 vcc, 5, v12
	v_cmp_eq_u32_e64 s[0:1], 3, v12
	v_lshrrev_b32_e32 v6, 2, v6
	v_and_b32_e32 v13, 7, v10
	s_or_b64 vcc, s[0:1], vcc
	v_cmp_lt_i32_e64 s[2:3], 5, v13
	v_cmp_eq_u32_e64 s[4:5], 3, v13
	v_addc_co_u32_e32 v6, vcc, 0, v6, vcc
	v_lshrrev_b32_e32 v10, 2, v10
	s_or_b64 vcc, s[4:5], s[2:3]
	v_addc_co_u32_e32 v10, vcc, 0, v10, vcc
	v_cmp_gt_i32_e32 vcc, 31, v7
	v_cndmask_b32_e32 v6, v2, v6, vcc
	v_cmp_gt_i32_e32 vcc, 31, v11
	v_lshl_or_b32 v0, v0, 9, v2
	v_lshl_or_b32 v4, v4, 9, v2
	v_cndmask_b32_e32 v2, v2, v10, vcc
	v_cmp_eq_u32_e32 vcc, s11, v7
	v_lshrrev_b32_e32 v1, 16, v1
	v_cndmask_b32_e32 v0, v6, v0, vcc
	v_cmp_eq_u32_e32 vcc, s11, v11
	v_lshrrev_b32_e32 v5, 16, v5
	v_cndmask_b32_e32 v2, v2, v4, vcc
	v_and_or_b32 v0, v1, s14, v0
	v_and_or_b32 v1, v5, s14, v2
	v_and_b32_e32 v0, 0xffff, v0
	v_lshl_or_b32 v2, v1, 16, v0
	v_add_co_u32_e32 v0, vcc, s6, v8
	v_addc_co_u32_e32 v1, vcc, v9, v3, vcc
	global_store_dword v[0:1], v2, off
.LBB0_15:
	s_endpgm
	.section	.rodata,"a",@progbits
	.p2align	6, 0x0
	.amdhsa_kernel bluestein_single_fwd_len1377_dim1_half_op_CI_CI
		.amdhsa_group_segment_fixed_size 5508
		.amdhsa_private_segment_fixed_size 60
		.amdhsa_kernarg_size 104
		.amdhsa_user_sgpr_count 6
		.amdhsa_user_sgpr_private_segment_buffer 1
		.amdhsa_user_sgpr_dispatch_ptr 0
		.amdhsa_user_sgpr_queue_ptr 0
		.amdhsa_user_sgpr_kernarg_segment_ptr 1
		.amdhsa_user_sgpr_dispatch_id 0
		.amdhsa_user_sgpr_flat_scratch_init 0
		.amdhsa_user_sgpr_private_segment_size 0
		.amdhsa_uses_dynamic_stack 0
		.amdhsa_system_sgpr_private_segment_wavefront_offset 1
		.amdhsa_system_sgpr_workgroup_id_x 1
		.amdhsa_system_sgpr_workgroup_id_y 0
		.amdhsa_system_sgpr_workgroup_id_z 0
		.amdhsa_system_sgpr_workgroup_info 0
		.amdhsa_system_vgpr_workitem_id 0
		.amdhsa_next_free_vgpr 256
		.amdhsa_next_free_sgpr 56
		.amdhsa_reserve_vcc 1
		.amdhsa_reserve_flat_scratch 0
		.amdhsa_float_round_mode_32 0
		.amdhsa_float_round_mode_16_64 0
		.amdhsa_float_denorm_mode_32 3
		.amdhsa_float_denorm_mode_16_64 3
		.amdhsa_dx10_clamp 1
		.amdhsa_ieee_mode 1
		.amdhsa_fp16_overflow 0
		.amdhsa_exception_fp_ieee_invalid_op 0
		.amdhsa_exception_fp_denorm_src 0
		.amdhsa_exception_fp_ieee_div_zero 0
		.amdhsa_exception_fp_ieee_overflow 0
		.amdhsa_exception_fp_ieee_underflow 0
		.amdhsa_exception_fp_ieee_inexact 0
		.amdhsa_exception_int_div_zero 0
	.end_amdhsa_kernel
	.text
.Lfunc_end0:
	.size	bluestein_single_fwd_len1377_dim1_half_op_CI_CI, .Lfunc_end0-bluestein_single_fwd_len1377_dim1_half_op_CI_CI
                                        ; -- End function
	.section	.AMDGPU.csdata,"",@progbits
; Kernel info:
; codeLenInByte = 59308
; NumSgprs: 60
; NumVgprs: 256
; ScratchSize: 60
; MemoryBound: 0
; FloatMode: 240
; IeeeMode: 1
; LDSByteSize: 5508 bytes/workgroup (compile time only)
; SGPRBlocks: 7
; VGPRBlocks: 63
; NumSGPRsForWavesPerEU: 60
; NumVGPRsForWavesPerEU: 256
; Occupancy: 1
; WaveLimiterHint : 1
; COMPUTE_PGM_RSRC2:SCRATCH_EN: 1
; COMPUTE_PGM_RSRC2:USER_SGPR: 6
; COMPUTE_PGM_RSRC2:TRAP_HANDLER: 0
; COMPUTE_PGM_RSRC2:TGID_X_EN: 1
; COMPUTE_PGM_RSRC2:TGID_Y_EN: 0
; COMPUTE_PGM_RSRC2:TGID_Z_EN: 0
; COMPUTE_PGM_RSRC2:TIDIG_COMP_CNT: 0
	.type	__hip_cuid_c68a26855eb6604a,@object ; @__hip_cuid_c68a26855eb6604a
	.section	.bss,"aw",@nobits
	.globl	__hip_cuid_c68a26855eb6604a
__hip_cuid_c68a26855eb6604a:
	.byte	0                               ; 0x0
	.size	__hip_cuid_c68a26855eb6604a, 1

	.ident	"AMD clang version 19.0.0git (https://github.com/RadeonOpenCompute/llvm-project roc-6.4.0 25133 c7fe45cf4b819c5991fe208aaa96edf142730f1d)"
	.section	".note.GNU-stack","",@progbits
	.addrsig
	.addrsig_sym __hip_cuid_c68a26855eb6604a
	.amdgpu_metadata
---
amdhsa.kernels:
  - .args:
      - .actual_access:  read_only
        .address_space:  global
        .offset:         0
        .size:           8
        .value_kind:     global_buffer
      - .actual_access:  read_only
        .address_space:  global
        .offset:         8
        .size:           8
        .value_kind:     global_buffer
      - .actual_access:  read_only
        .address_space:  global
        .offset:         16
        .size:           8
        .value_kind:     global_buffer
      - .actual_access:  read_only
        .address_space:  global
        .offset:         24
        .size:           8
        .value_kind:     global_buffer
      - .actual_access:  read_only
        .address_space:  global
        .offset:         32
        .size:           8
        .value_kind:     global_buffer
      - .offset:         40
        .size:           8
        .value_kind:     by_value
      - .address_space:  global
        .offset:         48
        .size:           8
        .value_kind:     global_buffer
      - .address_space:  global
        .offset:         56
        .size:           8
        .value_kind:     global_buffer
      - .address_space:  global
        .offset:         64
        .size:           8
        .value_kind:     global_buffer
      - .address_space:  global
        .offset:         72
        .size:           8
        .value_kind:     global_buffer
      - .offset:         80
        .size:           4
        .value_kind:     by_value
      - .address_space:  global
        .offset:         88
        .size:           8
        .value_kind:     global_buffer
      - .address_space:  global
        .offset:         96
        .size:           8
        .value_kind:     global_buffer
    .group_segment_fixed_size: 5508
    .kernarg_segment_align: 8
    .kernarg_segment_size: 104
    .language:       OpenCL C
    .language_version:
      - 2
      - 0
    .max_flat_workgroup_size: 51
    .name:           bluestein_single_fwd_len1377_dim1_half_op_CI_CI
    .private_segment_fixed_size: 60
    .sgpr_count:     60
    .sgpr_spill_count: 0
    .symbol:         bluestein_single_fwd_len1377_dim1_half_op_CI_CI.kd
    .uniform_work_group_size: 1
    .uses_dynamic_stack: false
    .vgpr_count:     256
    .vgpr_spill_count: 14
    .wavefront_size: 64
amdhsa.target:   amdgcn-amd-amdhsa--gfx906
amdhsa.version:
  - 1
  - 2
...

	.end_amdgpu_metadata
